;; amdgpu-corpus repo=ROCm/rocFFT kind=compiled arch=gfx1030 opt=O3
	.text
	.amdgcn_target "amdgcn-amd-amdhsa--gfx1030"
	.amdhsa_code_object_version 6
	.protected	bluestein_single_back_len375_dim1_dp_op_CI_CI ; -- Begin function bluestein_single_back_len375_dim1_dp_op_CI_CI
	.globl	bluestein_single_back_len375_dim1_dp_op_CI_CI
	.p2align	8
	.type	bluestein_single_back_len375_dim1_dp_op_CI_CI,@function
bluestein_single_back_len375_dim1_dp_op_CI_CI: ; @bluestein_single_back_len375_dim1_dp_op_CI_CI
; %bb.0:
	s_load_dwordx4 s[16:19], s[4:5], 0x28
	v_mul_u32_u24_e32 v1, 0xa3e, v0
	s_mov_b64 s[22:23], s[2:3]
	s_mov_b64 s[20:21], s[0:1]
	s_mov_b32 s0, exec_lo
	s_add_u32 s20, s20, s7
	v_lshrrev_b32_e32 v1, 16, v1
	s_addc_u32 s21, s21, 0
	v_mad_u64_u32 v[184:185], null, s6, 5, v[1:2]
	v_mov_b32_e32 v185, 0
	s_waitcnt lgkmcnt(0)
	v_cmpx_gt_u64_e64 s[16:17], v[184:185]
	s_cbranch_execz .LBB0_2
; %bb.1:
	s_clause 0x1
	s_load_dwordx4 s[0:3], s[4:5], 0x18
	s_load_dwordx4 s[8:11], s[4:5], 0x0
	v_mul_lo_u16 v1, v1, 25
	s_mov_b32 s17, 0xbfee6f0e
	s_load_dwordx2 s[4:5], s[4:5], 0x38
	v_sub_nc_u16 v60, v0, v1
	v_and_b32_e32 v7, 0xffff, v60
	v_mov_b32_e32 v28, v7
	s_waitcnt lgkmcnt(0)
	s_load_dwordx4 s[12:15], s[0:1], 0x0
	v_lshlrev_b32_e32 v61, 4, v28
	v_add_co_u32 v182, s0, s8, v61
	v_add_co_ci_u32_e64 v183, null, s9, 0, s0
	s_waitcnt lgkmcnt(0)
	v_mad_u64_u32 v[0:1], null, s14, v184, 0
	v_mad_u64_u32 v[2:3], null, s12, v7, 0
	s_mul_i32 s0, s13, 0x4b0
	s_mul_hi_u32 s6, s12, 0x4b0
	s_mul_i32 s1, s12, 0x4b0
	s_add_i32 s0, s6, s0
	s_mul_i32 s6, s13, 0xffffeed0
	v_mad_u64_u32 v[4:5], null, s15, v184, v[1:2]
	s_sub_i32 s6, s6, s12
	s_mov_b32 s14, 0x134454ff
	s_mov_b32 s15, 0x3fee6f0e
	;; [unrolled: 1-line block ×3, first 2 shown]
	v_mad_u64_u32 v[5:6], null, s13, v7, v[3:4]
	v_mov_b32_e32 v1, v4
	v_lshlrev_b64 v[0:1], 4, v[0:1]
	v_mov_b32_e32 v3, v5
	v_add_co_u32 v0, vcc_lo, s18, v0
	v_lshlrev_b64 v[2:3], 4, v[2:3]
	v_add_co_ci_u32_e32 v1, vcc_lo, s19, v1, vcc_lo
	s_mov_b32 s19, 0xbfebb67a
	v_add_co_u32 v0, vcc_lo, v0, v2
	v_add_co_ci_u32_e32 v1, vcc_lo, v1, v3, vcc_lo
	s_clause 0x1
	global_load_dwordx4 v[4:7], v61, s[8:9]
	global_load_dwordx4 v[29:32], v61, s[8:9] offset:1200
	global_load_dwordx4 v[36:39], v[0:1], off
	v_add_co_u32 v0, vcc_lo, v0, s1
	v_add_co_ci_u32_e32 v1, vcc_lo, s0, v1, vcc_lo
	v_add_co_u32 v52, vcc_lo, 0x800, v182
	v_add_co_ci_u32_e32 v53, vcc_lo, 0, v183, vcc_lo
	;; [unrolled: 2-line block ×3, first 2 shown]
	global_load_dwordx4 v[44:47], v[0:1], off
	global_load_dwordx4 v[40:43], v[52:53], off offset:352
	global_load_dwordx4 v[16:19], v[2:3], off
	v_add_co_u32 v20, vcc_lo, v2, s1
	v_add_co_ci_u32_e32 v21, vcc_lo, s0, v3, vcc_lo
	v_add_co_u32 v180, vcc_lo, 0x1000, v182
	v_add_co_ci_u32_e32 v181, vcc_lo, 0, v183, vcc_lo
	v_add_co_u32 v0, vcc_lo, v20, s1
	v_add_co_ci_u32_e32 v1, vcc_lo, s0, v21, vcc_lo
	global_load_dwordx4 v[10:13], v[52:53], off offset:1552
	global_load_dwordx4 v[24:27], v[20:21], off
	global_load_dwordx4 v[20:23], v[180:181], off offset:704
	global_load_dwordx4 v[48:51], v[0:1], off
	global_load_dwordx4 v[54:57], v61, s[8:9] offset:400
	v_mad_u64_u32 v[0:1], null, 0xffffeed0, s12, v[0:1]
	v_add_nc_u32_e32 v1, s6, v1
	s_waitcnt vmcnt(10)
	v_mov_b32_e32 v9, v7
	v_mov_b32_e32 v8, v6
	;; [unrolled: 1-line block ×8, first 2 shown]
	buffer_store_dword v64, off, s[20:23], 0 offset:160 ; 4-byte Folded Spill
	buffer_store_dword v65, off, s[20:23], 0 offset:164 ; 4-byte Folded Spill
	;; [unrolled: 1-line block ×4, first 2 shown]
	s_clause 0x1
	global_load_dwordx4 v[106:109], v61, s[8:9] offset:800
	global_load_dwordx4 v[90:93], v[52:53], off offset:752
	s_waitcnt vmcnt(11)
	buffer_store_dword v29, off, s[20:23], 0 offset:16 ; 4-byte Folded Spill
	buffer_store_dword v30, off, s[20:23], 0 offset:20 ; 4-byte Folded Spill
	;; [unrolled: 1-line block ×4, first 2 shown]
	s_waitcnt vmcnt(10)
	v_mul_f64 v[2:3], v[38:39], v[8:9]
	v_mul_f64 v[4:5], v[36:37], v[8:9]
	v_fma_f64 v[62:63], v[36:37], v[64:65], v[2:3]
	v_fma_f64 v[64:65], v[38:39], v[64:65], -v[4:5]
	s_waitcnt vmcnt(9)
	v_mul_f64 v[6:7], v[46:47], v[31:32]
	v_mul_f64 v[8:9], v[44:45], v[31:32]
	s_waitcnt vmcnt(7)
	v_mul_f64 v[2:3], v[18:19], v[42:43]
	v_mul_f64 v[4:5], v[16:17], v[42:43]
	v_fma_f64 v[66:67], v[44:45], v[29:30], v[6:7]
	v_fma_f64 v[68:69], v[46:47], v[29:30], -v[8:9]
	global_load_dwordx4 v[29:32], v[52:53], off offset:1152
	buffer_store_dword v40, off, s[20:23], 0 offset:64 ; 4-byte Folded Spill
	buffer_store_dword v41, off, s[20:23], 0 offset:68 ; 4-byte Folded Spill
	buffer_store_dword v42, off, s[20:23], 0 offset:72 ; 4-byte Folded Spill
	buffer_store_dword v43, off, s[20:23], 0 offset:76 ; 4-byte Folded Spill
	s_waitcnt vmcnt(7)
	buffer_store_dword v10, off, s[20:23], 0 offset:32 ; 4-byte Folded Spill
	buffer_store_dword v11, off, s[20:23], 0 offset:36 ; 4-byte Folded Spill
	;; [unrolled: 1-line block ×4, first 2 shown]
	global_load_dwordx4 v[6:9], v[180:181], off offset:304
	s_waitcnt vmcnt(6)
	buffer_store_dword v20, off, s[20:23], 0 offset:48 ; 4-byte Folded Spill
	buffer_store_dword v21, off, s[20:23], 0 offset:52 ; 4-byte Folded Spill
	buffer_store_dword v22, off, s[20:23], 0 offset:56 ; 4-byte Folded Spill
	buffer_store_dword v23, off, s[20:23], 0 offset:60 ; 4-byte Folded Spill
	v_fma_f64 v[70:71], v[16:17], v[40:41], v[2:3]
	v_fma_f64 v[72:73], v[18:19], v[40:41], -v[4:5]
	v_mul_f64 v[2:3], v[26:27], v[12:13]
	v_mul_f64 v[4:5], v[24:25], v[12:13]
	v_fma_f64 v[74:75], v[24:25], v[10:11], v[2:3]
	v_fma_f64 v[76:77], v[26:27], v[10:11], -v[4:5]
	global_load_dwordx4 v[24:27], v[0:1], off
	s_waitcnt vmcnt(5)
	buffer_store_dword v54, off, s[20:23], 0 offset:80 ; 4-byte Folded Spill
	buffer_store_dword v55, off, s[20:23], 0 offset:84 ; 4-byte Folded Spill
	;; [unrolled: 1-line block ×4, first 2 shown]
	v_mul_f64 v[2:3], v[50:51], v[22:23]
	v_mul_f64 v[4:5], v[48:49], v[22:23]
	v_add_co_u32 v0, vcc_lo, v0, s1
	v_add_co_ci_u32_e32 v1, vcc_lo, s0, v1, vcc_lo
	v_fma_f64 v[78:79], v[48:49], v[20:21], v[2:3]
	v_fma_f64 v[80:81], v[50:51], v[20:21], -v[4:5]
	s_waitcnt vmcnt(0)
	v_mul_f64 v[2:3], v[26:27], v[56:57]
	v_mul_f64 v[4:5], v[24:25], v[56:57]
	v_fma_f64 v[82:83], v[24:25], v[54:55], v[2:3]
	v_fma_f64 v[84:85], v[26:27], v[54:55], -v[4:5]
	global_load_dwordx4 v[24:27], v[0:1], off
	global_load_dwordx4 v[10:13], v61, s[8:9] offset:1600
	v_add_co_u32 v0, vcc_lo, v0, s1
	v_add_co_ci_u32_e32 v1, vcc_lo, s0, v1, vcc_lo
	s_waitcnt vmcnt(0)
	buffer_store_dword v10, off, s[20:23], 0 offset:96 ; 4-byte Folded Spill
	buffer_store_dword v11, off, s[20:23], 0 offset:100 ; 4-byte Folded Spill
	;; [unrolled: 1-line block ×4, first 2 shown]
	global_load_dwordx4 v[14:17], v61, s[8:9] offset:2000
	s_mov_b32 s9, 0xbfe2cf23
	v_mul_f64 v[2:3], v[26:27], v[12:13]
	v_mul_f64 v[4:5], v[24:25], v[12:13]
	v_fma_f64 v[86:87], v[24:25], v[10:11], v[2:3]
	v_fma_f64 v[88:89], v[26:27], v[10:11], -v[4:5]
	v_mov_b32_e32 v10, v90
	v_mov_b32_e32 v11, v91
	;; [unrolled: 1-line block ×4, first 2 shown]
	global_load_dwordx4 v[24:27], v[0:1], off
	buffer_store_dword v10, off, s[20:23], 0 offset:144 ; 4-byte Folded Spill
	buffer_store_dword v11, off, s[20:23], 0 offset:148 ; 4-byte Folded Spill
	;; [unrolled: 1-line block ×4, first 2 shown]
	v_add_co_u32 v0, vcc_lo, v0, s1
	v_add_co_ci_u32_e32 v1, vcc_lo, s0, v1, vcc_lo
	s_waitcnt vmcnt(0)
	v_mul_f64 v[2:3], v[26:27], v[12:13]
	v_mul_f64 v[4:5], v[24:25], v[12:13]
	v_fma_f64 v[90:91], v[24:25], v[10:11], v[2:3]
	v_fma_f64 v[92:93], v[26:27], v[10:11], -v[4:5]
	global_load_dwordx4 v[10:13], v[52:53], off offset:1952
	s_waitcnt vmcnt(0)
	buffer_store_dword v10, off, s[20:23], 0 offset:128 ; 4-byte Folded Spill
	buffer_store_dword v11, off, s[20:23], 0 offset:132 ; 4-byte Folded Spill
	;; [unrolled: 1-line block ×4, first 2 shown]
	global_load_dwordx4 v[24:27], v[0:1], off
	v_add_co_u32 v0, vcc_lo, v0, s1
	v_add_co_ci_u32_e32 v1, vcc_lo, s0, v1, vcc_lo
	global_load_dwordx4 v[98:101], v[0:1], off
	global_load_dwordx4 v[18:21], v[180:181], off offset:1104
	v_mad_u64_u32 v[0:1], null, 0xffffeed0, s12, v[0:1]
	s_mov_b32 s12, 0x372fe950
	s_mov_b32 s13, 0x3fd3c6ef
	s_waitcnt vmcnt(0)
	buffer_store_dword v18, off, s[20:23], 0 offset:176 ; 4-byte Folded Spill
	buffer_store_dword v19, off, s[20:23], 0 offset:180 ; 4-byte Folded Spill
	;; [unrolled: 1-line block ×4, first 2 shown]
	v_mul_f64 v[2:3], v[26:27], v[12:13]
	v_mul_f64 v[4:5], v[24:25], v[12:13]
	v_add_nc_u32_e32 v1, s6, v1
	s_mov_b32 s6, 0x4755a5e
	s_mov_b32 s7, 0x3fe2cf23
	;; [unrolled: 1-line block ×3, first 2 shown]
	global_load_dwordx4 v[102:105], v[0:1], off
	v_add_co_u32 v0, vcc_lo, v0, s1
	v_add_co_ci_u32_e32 v1, vcc_lo, s0, v1, vcc_lo
	v_fma_f64 v[94:95], v[24:25], v[10:11], v[2:3]
	v_fma_f64 v[96:97], v[26:27], v[10:11], -v[4:5]
	global_load_dwordx4 v[10:13], v[180:181], off offset:1504
	buffer_store_dword v106, off, s[20:23], 0 offset:192 ; 4-byte Folded Spill
	buffer_store_dword v107, off, s[20:23], 0 offset:196 ; 4-byte Folded Spill
	;; [unrolled: 1-line block ×4, first 2 shown]
	v_mov_b32_e32 v26, 6
	v_mul_f64 v[2:3], v[100:101], v[20:21]
	v_mul_f64 v[4:5], v[98:99], v[20:21]
	v_fma_f64 v[98:99], v[98:99], v[18:19], v[2:3]
	v_fma_f64 v[100:101], v[100:101], v[18:19], -v[4:5]
	s_waitcnt vmcnt(1)
	v_mul_f64 v[2:3], v[104:105], v[108:109]
	v_mul_f64 v[4:5], v[102:103], v[108:109]
	v_fma_f64 v[102:103], v[102:103], v[106:107], v[2:3]
	v_fma_f64 v[104:105], v[104:105], v[106:107], -v[4:5]
	global_load_dwordx4 v[106:109], v[0:1], off
	buffer_store_dword v14, off, s[20:23], 0 offset:208 ; 4-byte Folded Spill
	buffer_store_dword v15, off, s[20:23], 0 offset:212 ; 4-byte Folded Spill
	;; [unrolled: 1-line block ×4, first 2 shown]
	v_add_co_u32 v0, vcc_lo, v0, s1
	v_add_co_ci_u32_e32 v1, vcc_lo, s0, v1, vcc_lo
	global_load_dwordx4 v[110:113], v[0:1], off
	buffer_store_dword v29, off, s[20:23], 0 offset:224 ; 4-byte Folded Spill
	buffer_store_dword v30, off, s[20:23], 0 offset:228 ; 4-byte Folded Spill
	buffer_store_dword v31, off, s[20:23], 0 offset:232 ; 4-byte Folded Spill
	buffer_store_dword v32, off, s[20:23], 0 offset:236 ; 4-byte Folded Spill
	v_add_co_u32 v0, vcc_lo, v0, s1
	v_add_co_ci_u32_e32 v1, vcc_lo, s0, v1, vcc_lo
	global_load_dwordx4 v[114:117], v[0:1], off
	v_add_co_u32 v0, vcc_lo, v0, s1
	v_add_co_ci_u32_e32 v1, vcc_lo, s0, v1, vcc_lo
	buffer_store_dword v6, off, s[20:23], 0 offset:112 ; 4-byte Folded Spill
	buffer_store_dword v7, off, s[20:23], 0 offset:116 ; 4-byte Folded Spill
	;; [unrolled: 1-line block ×4, first 2 shown]
	global_load_dwordx4 v[118:121], v[0:1], off
	s_waitcnt vmcnt(4)
	buffer_store_dword v10, off, s[20:23], 0 ; 4-byte Folded Spill
	buffer_store_dword v11, off, s[20:23], 0 offset:4 ; 4-byte Folded Spill
	buffer_store_dword v12, off, s[20:23], 0 offset:8 ; 4-byte Folded Spill
	;; [unrolled: 1-line block ×3, first 2 shown]
	s_waitcnt vmcnt(3)
	v_mul_f64 v[2:3], v[108:109], v[16:17]
	v_mul_f64 v[4:5], v[106:107], v[16:17]
	v_fma_f64 v[106:107], v[106:107], v[14:15], v[2:3]
	s_waitcnt vmcnt(2)
	v_mul_f64 v[2:3], v[112:113], v[31:32]
	v_fma_f64 v[108:109], v[108:109], v[14:15], -v[4:5]
	v_mul_f64 v[4:5], v[110:111], v[31:32]
	s_waitcnt vmcnt(0)
	v_mul_f64 v[0:1], v[120:121], v[12:13]
	v_fma_f64 v[110:111], v[110:111], v[29:30], v[2:3]
	v_mul_f64 v[2:3], v[116:117], v[8:9]
	v_fma_f64 v[112:113], v[112:113], v[29:30], -v[4:5]
	v_mul_f64 v[4:5], v[114:115], v[8:9]
	v_mov_b32_e32 v29, v28
	v_fma_f64 v[114:115], v[114:115], v[6:7], v[2:3]
	v_mul_f64 v[2:3], v[118:119], v[12:13]
	v_fma_f64 v[118:119], v[118:119], v[10:11], v[0:1]
	v_mul_hi_u32 v0, 0xcccccccd, v184
	v_fma_f64 v[116:117], v[116:117], v[6:7], -v[4:5]
	v_lshrrev_b32_e32 v0, 2, v0
	v_lshl_add_u32 v0, v0, 2, v0
	v_sub_nc_u32_e32 v0, v184, v0
	v_fma_f64 v[120:121], v[120:121], v[10:11], -v[2:3]
	v_mul_u32_u24_e32 v0, 0x177, v0
	v_lshlrev_b32_e32 v144, 4, v0
	v_add_nc_u32_e32 v186, v61, v144
	ds_write_b128 v186, v[62:65]
	ds_write_b128 v186, v[66:69] offset:1200
	ds_write_b128 v186, v[70:73] offset:2400
	;; [unrolled: 1-line block ×13, first 2 shown]
	s_load_dwordx4 s[0:3], s[2:3], 0x0
	ds_write_b128 v186, v[118:121] offset:5600
	s_waitcnt lgkmcnt(0)
	s_waitcnt_vscnt null, 0x0
	s_barrier
	buffer_gl0_inv
	ds_read_b128 v[61:64], v186 offset:1200
	ds_read_b128 v[65:68], v186
	ds_read_b128 v[69:72], v186 offset:400
	ds_read_b128 v[73:76], v186 offset:800
	ds_read_b128 v[77:80], v186 offset:2400
	ds_read_b128 v[81:84], v186 offset:2800
	ds_read_b128 v[85:88], v186 offset:3600
	ds_read_b128 v[89:92], v186 offset:3200
	s_waitcnt lgkmcnt(6)
	v_add_f64 v[0:1], v[65:66], v[61:62]
	v_add_f64 v[2:3], v[67:68], v[63:64]
	s_waitcnt lgkmcnt(3)
	v_add_f64 v[8:9], v[61:62], -v[77:78]
	s_waitcnt lgkmcnt(1)
	v_add_f64 v[4:5], v[77:78], v[85:86]
	v_add_f64 v[6:7], v[79:80], -v[87:88]
	v_add_f64 v[10:11], v[77:78], -v[61:62]
	v_add_f64 v[12:13], v[79:80], v[87:88]
	v_add_f64 v[14:15], v[77:78], -v[85:86]
	v_add_f64 v[16:17], v[63:64], -v[79:80]
	;; [unrolled: 1-line block ×3, first 2 shown]
	v_add_f64 v[0:1], v[0:1], v[77:78]
	v_add_f64 v[2:3], v[2:3], v[79:80]
	ds_read_b128 v[77:80], v186 offset:4800
	ds_read_b128 v[93:96], v186 offset:5200
	s_waitcnt lgkmcnt(1)
	v_add_f64 v[20:21], v[63:64], -v[79:80]
	v_add_f64 v[0:1], v[0:1], v[85:86]
	v_add_f64 v[2:3], v[2:3], v[87:88]
	;; [unrolled: 1-line block ×3, first 2 shown]
	v_add_f64 v[105:106], v[61:62], -v[77:78]
	v_add_f64 v[107:108], v[63:64], v[79:80]
	v_add_f64 v[109:110], v[77:78], -v[85:86]
	v_add_f64 v[111:112], v[85:86], -v[77:78]
	;; [unrolled: 1-line block ×4, first 2 shown]
	v_add_f64 v[61:62], v[0:1], v[77:78]
	v_add_f64 v[63:64], v[2:3], v[79:80]
	ds_read_b128 v[77:80], v186 offset:1600
	ds_read_b128 v[85:88], v186 offset:2000
	;; [unrolled: 1-line block ×4, first 2 shown]
	v_add_f64 v[8:9], v[8:9], v[109:110]
	v_add_f64 v[16:17], v[16:17], v[113:114]
	s_waitcnt lgkmcnt(3)
	v_add_f64 v[0:1], v[69:70], v[77:78]
	v_add_f64 v[2:3], v[71:72], v[79:80]
	v_add_f64 v[121:122], v[77:78], -v[81:82]
	v_add_f64 v[123:124], v[81:82], -v[77:78]
	v_add_f64 v[135:136], v[77:78], v[93:94]
	v_add_f64 v[137:138], v[77:78], -v[93:94]
	v_add_f64 v[129:130], v[79:80], -v[83:84]
	;; [unrolled: 1-line block ×4, first 2 shown]
	v_add_f64 v[139:140], v[79:80], v[95:96]
	s_waitcnt lgkmcnt(1)
	v_add_f64 v[117:118], v[81:82], v[97:98]
	v_add_f64 v[119:120], v[83:84], -v[99:100]
	v_add_f64 v[125:126], v[83:84], v[99:100]
	v_add_f64 v[127:128], v[81:82], -v[97:98]
	v_add_f64 v[141:142], v[93:94], -v[97:98]
	;; [unrolled: 1-line block ×4, first 2 shown]
	s_waitcnt lgkmcnt(0)
	v_add_f64 v[153:154], v[89:90], -v[101:102]
	v_add_f64 v[145:146], v[95:96], -v[99:100]
	;; [unrolled: 1-line block ×5, first 2 shown]
	v_add_f64 v[0:1], v[0:1], v[81:82]
	v_add_f64 v[2:3], v[2:3], v[83:84]
	ds_read_b128 v[81:84], v186 offset:5600
	s_waitcnt lgkmcnt(0)
	s_barrier
	buffer_gl0_inv
	v_add_f64 v[0:1], v[0:1], v[97:98]
	v_add_f64 v[2:3], v[2:3], v[99:100]
	v_add_f64 v[97:98], v[97:98], -v[93:94]
	v_add_f64 v[161:162], v[85:86], -v[81:82]
	;; [unrolled: 1-line block ×8, first 2 shown]
	v_add_f64 v[77:78], v[0:1], v[93:94]
	v_add_f64 v[0:1], v[73:74], v[85:86]
	;; [unrolled: 1-line block ×11, first 2 shown]
	v_fma_f64 v[101:102], v[135:136], -0.5, v[69:70]
	v_add_f64 v[2:3], v[2:3], v[103:104]
	v_fma_f64 v[103:104], v[125:126], -0.5, v[71:72]
	v_fma_f64 v[135:136], v[95:96], -0.5, v[75:76]
	v_fma_f64 v[125:126], v[89:90], -0.5, v[73:74]
	v_add_f64 v[81:82], v[0:1], v[81:82]
	v_fma_f64 v[0:1], v[4:5], -0.5, v[65:66]
	v_fma_f64 v[4:5], v[12:13], -0.5, v[67:68]
	;; [unrolled: 4-line block ×3, first 2 shown]
	v_fma_f64 v[22:23], v[117:118], -0.5, v[69:70]
	v_fma_f64 v[139:140], v[85:86], -0.5, v[75:76]
	;; [unrolled: 1-line block ×3, first 2 shown]
	v_fma_f64 v[65:66], v[20:21], s[14:15], v[0:1]
	v_fma_f64 v[67:68], v[105:106], s[16:17], v[4:5]
	;; [unrolled: 1-line block ×14, first 2 shown]
	v_add_f64 v[8:9], v[10:11], v[111:112]
	v_add_f64 v[10:11], v[18:19], v[115:116]
	v_fma_f64 v[2:3], v[6:7], s[14:15], v[2:3]
	v_fma_f64 v[6:7], v[14:15], s[16:17], v[12:13]
	;; [unrolled: 1-line block ×9, first 2 shown]
	v_add_f64 v[0:1], v[121:122], v[141:142]
	v_fma_f64 v[85:86], v[8:9], s[12:13], v[2:3]
	v_fma_f64 v[87:88], v[10:11], s[12:13], v[6:7]
	;; [unrolled: 1-line block ×3, first 2 shown]
	v_add_f64 v[2:3], v[129:130], v[145:146]
	v_add_f64 v[10:11], v[131:132], v[99:100]
	;; [unrolled: 1-line block ×3, first 2 shown]
	v_fma_f64 v[4:5], v[119:120], s[6:7], v[4:5]
	v_fma_f64 v[6:7], v[127:128], s[8:9], v[6:7]
	;; [unrolled: 1-line block ×21, first 2 shown]
	v_add_f64 v[0:1], v[151:152], v[165:166]
	v_fma_f64 v[103:104], v[10:11], s[12:13], v[6:7]
	v_fma_f64 v[6:7], v[153:154], s[14:15], v[139:140]
	;; [unrolled: 1-line block ×3, first 2 shown]
	v_add_f64 v[2:3], v[157:158], v[169:170]
	v_add_f64 v[8:9], v[149:150], v[163:164]
	;; [unrolled: 1-line block ×3, first 2 shown]
	v_add_co_u32 v156, null, v28, 50
	v_and_b32_e32 v128, 0xff, v156
	v_fma_f64 v[4:5], v[159:160], s[6:7], v[4:5]
	v_fma_f64 v[6:7], v[161:162], s[8:9], v[6:7]
	;; [unrolled: 1-line block ×17, first 2 shown]
	v_add_co_u32 v148, null, v28, 25
	v_fma_f64 v[6:7], v[153:154], s[6:7], v[6:7]
	v_and_b32_e32 v16, 0xff, v148
	v_mul_lo_u16 v16, 0xcd, v16
	v_fma_f64 v[113:114], v[8:9], s[12:13], v[0:1]
	v_mul_lo_u16 v0, v60, 5
	v_fma_f64 v[115:116], v[10:11], s[12:13], v[4:5]
	v_lshrrev_b16 v24, 10, v16
	v_and_b32_e32 v0, 0xffff, v0
	v_fma_f64 v[117:118], v[8:9], s[12:13], v[2:3]
	v_mul_lo_u16 v16, v24, 5
	v_fma_f64 v[119:120], v[10:11], s[12:13], v[6:7]
	v_lshl_add_u32 v193, v0, 4, v144
	v_mul_u32_u24_e32 v0, 5, v148
	ds_write_b128 v193, v[61:64]
	ds_write_b128 v193, v[65:68] offset:16
	ds_write_b128 v193, v[73:76] offset:32
	;; [unrolled: 1-line block ×4, first 2 shown]
	v_lshl_add_u32 v192, v0, 4, v144
	v_mul_u32_u24_e32 v0, 5, v156
	ds_write_b128 v192, v[77:80]
	ds_write_b128 v192, v[89:92] offset:16
	ds_write_b128 v192, v[97:100] offset:32
	;; [unrolled: 1-line block ×4, first 2 shown]
	v_lshl_add_u32 v191, v0, 4, v144
	v_and_b32_e32 v0, 0xff, v60
	ds_write_b128 v191, v[81:84]
	ds_write_b128 v191, v[113:116] offset:16
	ds_write_b128 v191, v[105:108] offset:32
	;; [unrolled: 1-line block ×4, first 2 shown]
	v_mul_lo_u16 v0, 0xcd, v0
	s_waitcnt lgkmcnt(0)
	s_barrier
	buffer_gl0_inv
	v_sub_nc_u16 v25, v148, v16
	v_lshrrev_b16 v68, 10, v0
	v_lshlrev_b32_sdwa v27, v26, v25 dst_sel:DWORD dst_unused:UNUSED_PAD src0_sel:DWORD src1_sel:BYTE_0
	v_mul_lo_u16 v0, v68, 5
	v_sub_nc_u16 v69, v60, v0
	v_lshlrev_b16 v0, 2, v69
	v_and_b32_e32 v0, 0xfc, v0
	v_lshlrev_b32_e32 v70, 4, v0
	s_clause 0x1
	global_load_dwordx4 v[4:7], v70, s[10:11]
	global_load_dwordx4 v[64:67], v70, s[10:11] offset:16
	ds_read_b128 v[71:74], v186 offset:1200
	ds_read_b128 v[116:119], v186 offset:800
	s_waitcnt vmcnt(1)
	buffer_store_dword v4, off, s[20:23], 0 offset:244 ; 4-byte Folded Spill
	buffer_store_dword v5, off, s[20:23], 0 offset:248 ; 4-byte Folded Spill
	;; [unrolled: 1-line block ×4, first 2 shown]
	s_waitcnt lgkmcnt(1)
	v_mul_f64 v[0:1], v[73:74], v[6:7]
	v_mul_f64 v[2:3], v[71:72], v[6:7]
	v_fma_f64 v[0:1], v[71:72], v[4:5], -v[0:1]
	v_fma_f64 v[2:3], v[73:74], v[4:5], v[2:3]
	ds_read_b128 v[71:74], v186 offset:2400
	ds_read_b128 v[88:91], v186 offset:2800
	s_clause 0x1
	global_load_dwordx4 v[80:83], v70, s[10:11] offset:32
	global_load_dwordx4 v[76:79], v70, s[10:11] offset:48
	s_waitcnt vmcnt(2) lgkmcnt(1)
	v_mul_f64 v[4:5], v[73:74], v[66:67]
	v_mul_f64 v[6:7], v[71:72], v[66:67]
	v_fma_f64 v[4:5], v[71:72], v[64:65], -v[4:5]
	v_fma_f64 v[6:7], v[73:74], v[64:65], v[6:7]
	ds_read_b128 v[70:73], v186 offset:3600
	ds_read_b128 v[104:107], v186 offset:3200
	s_waitcnt vmcnt(1) lgkmcnt(1)
	v_mul_f64 v[8:9], v[72:73], v[82:83]
	v_mul_f64 v[10:11], v[70:71], v[82:83]
	v_fma_f64 v[8:9], v[70:71], v[80:81], -v[8:9]
	v_fma_f64 v[10:11], v[72:73], v[80:81], v[10:11]
	ds_read_b128 v[70:73], v186 offset:4800
	ds_read_b128 v[100:103], v186 offset:5200
	s_clause 0x1
	global_load_dwordx4 v[92:95], v27, s[10:11]
	global_load_dwordx4 v[84:87], v27, s[10:11] offset:16
	s_waitcnt vmcnt(2) lgkmcnt(1)
	v_mul_f64 v[12:13], v[70:71], v[78:79]
	v_mul_f64 v[14:15], v[72:73], v[78:79]
	v_add_f64 v[124:125], v[4:5], v[8:9]
	v_add_f64 v[139:140], v[6:7], -v[10:11]
	v_add_f64 v[151:152], v[4:5], -v[8:9]
	v_fma_f64 v[12:13], v[72:73], v[76:77], v[12:13]
	v_fma_f64 v[14:15], v[70:71], v[76:77], -v[14:15]
	ds_read_b128 v[70:73], v186 offset:1600
	ds_read_b128 v[112:115], v186 offset:2000
	v_add_f64 v[137:138], v[2:3], -v[12:13]
	v_add_f64 v[149:150], v[0:1], -v[14:15]
	s_waitcnt vmcnt(1) lgkmcnt(1)
	v_mul_f64 v[16:17], v[72:73], v[94:95]
	s_waitcnt vmcnt(0)
	v_mul_f64 v[20:21], v[90:91], v[86:87]
	v_mul_f64 v[22:23], v[88:89], v[86:87]
	;; [unrolled: 1-line block ×3, first 2 shown]
	v_fma_f64 v[16:17], v[70:71], v[92:93], -v[16:17]
	v_fma_f64 v[20:21], v[88:89], v[84:85], -v[20:21]
	v_fma_f64 v[22:23], v[90:91], v[84:85], v[22:23]
	s_clause 0x1
	global_load_dwordx4 v[96:99], v27, s[10:11] offset:32
	global_load_dwordx4 v[88:91], v27, s[10:11] offset:48
	v_fma_f64 v[18:19], v[72:73], v[92:93], v[18:19]
	ds_read_b128 v[70:73], v186 offset:4000
	ds_read_b128 v[120:123], v186 offset:4400
	v_mul_lo_u16 v27, 0xcd, v128
	v_lshrrev_b16 v27, 10, v27
	v_mul_lo_u16 v28, v27, 5
	v_sub_nc_u16 v28, v156, v28
	v_lshlrev_b32_sdwa v26, v26, v28 dst_sel:DWORD dst_unused:UNUSED_PAD src0_sel:DWORD src1_sel:BYTE_0
	s_waitcnt vmcnt(1) lgkmcnt(1)
	v_mul_f64 v[74:75], v[72:73], v[98:99]
	v_fma_f64 v[74:75], v[70:71], v[96:97], -v[74:75]
	v_mul_f64 v[70:71], v[70:71], v[98:99]
	v_add_f64 v[161:162], v[20:21], -v[74:75]
	v_fma_f64 v[141:142], v[72:73], v[96:97], v[70:71]
	s_waitcnt vmcnt(0)
	v_mul_f64 v[70:71], v[102:103], v[90:91]
	v_fma_f64 v[145:146], v[100:101], v[88:89], -v[70:71]
	v_mul_f64 v[70:71], v[100:101], v[90:91]
	v_fma_f64 v[153:154], v[102:103], v[88:89], v[70:71]
	s_clause 0x1
	global_load_dwordx4 v[108:111], v26, s[10:11]
	global_load_dwordx4 v[100:103], v26, s[10:11] offset:16
	s_waitcnt vmcnt(1)
	v_mul_f64 v[70:71], v[114:115], v[110:111]
	v_fma_f64 v[177:178], v[112:113], v[108:109], -v[70:71]
	v_mul_f64 v[70:71], v[112:113], v[110:111]
	v_fma_f64 v[187:188], v[114:115], v[108:109], v[70:71]
	s_waitcnt vmcnt(0)
	v_mul_f64 v[70:71], v[106:107], v[102:103]
	v_fma_f64 v[189:190], v[104:105], v[100:101], -v[70:71]
	v_mul_f64 v[70:71], v[104:105], v[102:103]
	v_fma_f64 v[194:195], v[106:107], v[100:101], v[70:71]
	s_clause 0x1
	global_load_dwordx4 v[112:115], v26, s[10:11] offset:32
	global_load_dwordx4 v[104:107], v26, s[10:11] offset:48
	s_waitcnt vmcnt(1) lgkmcnt(0)
	v_mul_f64 v[70:71], v[122:123], v[114:115]
	v_fma_f64 v[196:197], v[120:121], v[112:113], -v[70:71]
	v_mul_f64 v[70:71], v[120:121], v[114:115]
	v_fma_f64 v[198:199], v[122:123], v[112:113], v[70:71]
	ds_read_b128 v[70:73], v186 offset:5600
	s_waitcnt vmcnt(0) lgkmcnt(0)
	v_mul_f64 v[120:121], v[72:73], v[106:107]
	v_fma_f64 v[200:201], v[70:71], v[104:105], -v[120:121]
	v_mul_f64 v[70:71], v[70:71], v[106:107]
	v_fma_f64 v[202:203], v[72:73], v[104:105], v[70:71]
	v_add_f64 v[70:71], v[0:1], -v[4:5]
	v_add_f64 v[72:73], v[14:15], -v[8:9]
	v_add_f64 v[129:130], v[70:71], v[72:73]
	v_add_f64 v[70:71], v[2:3], -v[6:7]
	v_add_f64 v[72:73], v[12:13], -v[10:11]
	v_add_f64 v[131:132], v[70:71], v[72:73]
	ds_read_b128 v[70:73], v186
	ds_read_b128 v[120:123], v186 offset:400
	s_waitcnt lgkmcnt(0)
	s_waitcnt_vscnt null, 0x0
	s_barrier
	buffer_gl0_inv
	v_fma_f64 v[133:134], v[124:125], -0.5, v[70:71]
	v_add_f64 v[124:125], v[6:7], v[10:11]
	v_fma_f64 v[135:136], v[124:125], -0.5, v[72:73]
	v_fma_f64 v[124:125], v[137:138], s[14:15], v[133:134]
	v_fma_f64 v[133:134], v[137:138], s[16:17], v[133:134]
	;; [unrolled: 1-line block ×10, first 2 shown]
	v_add_f64 v[133:134], v[0:1], v[14:15]
	v_fma_f64 v[126:127], v[131:132], s[12:13], v[126:127]
	v_fma_f64 v[131:132], v[131:132], s[12:13], v[135:136]
	v_add_f64 v[135:136], v[2:3], v[12:13]
	v_fma_f64 v[133:134], v[133:134], -0.5, v[70:71]
	v_add_f64 v[70:71], v[70:71], v[0:1]
	v_add_f64 v[0:1], v[4:5], -v[0:1]
	v_fma_f64 v[135:136], v[135:136], -0.5, v[72:73]
	v_add_f64 v[72:73], v[72:73], v[2:3]
	v_add_f64 v[2:3], v[6:7], -v[2:3]
	v_add_f64 v[4:5], v[70:71], v[4:5]
	v_add_f64 v[70:71], v[72:73], v[6:7]
	;; [unrolled: 1-line block ×3, first 2 shown]
	v_add_f64 v[8:9], v[8:9], -v[14:15]
	v_add_f64 v[6:7], v[70:71], v[10:11]
	v_add_f64 v[70:71], v[4:5], v[14:15]
	v_add_f64 v[4:5], v[10:11], -v[12:13]
	v_fma_f64 v[10:11], v[139:140], s[14:15], v[133:134]
	v_fma_f64 v[14:15], v[151:152], s[16:17], v[135:136]
	v_add_f64 v[0:1], v[0:1], v[8:9]
	v_add_f64 v[72:73], v[6:7], v[12:13]
	v_fma_f64 v[6:7], v[139:140], s[16:17], v[133:134]
	v_fma_f64 v[12:13], v[151:152], s[14:15], v[135:136]
	v_add_f64 v[2:3], v[2:3], v[4:5]
	v_fma_f64 v[4:5], v[137:138], s[6:7], v[6:7]
	v_fma_f64 v[6:7], v[137:138], s[8:9], v[10:11]
	;; [unrolled: 1-line block ×4, first 2 shown]
	v_add_f64 v[14:15], v[16:17], -v[145:146]
	v_fma_f64 v[133:134], v[0:1], s[12:13], v[4:5]
	v_fma_f64 v[137:138], v[0:1], s[12:13], v[6:7]
	;; [unrolled: 1-line block ×4, first 2 shown]
	v_add_f64 v[0:1], v[16:17], -v[20:21]
	v_add_f64 v[2:3], v[145:146], -v[74:75]
	;; [unrolled: 1-line block ×3, first 2 shown]
	v_add_f64 v[6:7], v[22:23], v[141:142]
	v_add_f64 v[8:9], v[18:19], -v[153:154]
	v_add_f64 v[10:11], v[22:23], -v[141:142]
	v_add_f64 v[0:1], v[0:1], v[2:3]
	v_add_f64 v[2:3], v[18:19], -v[22:23]
	v_fma_f64 v[6:7], v[6:7], -0.5, v[122:123]
	v_add_f64 v[2:3], v[2:3], v[4:5]
	v_add_f64 v[4:5], v[20:21], v[74:75]
	v_fma_f64 v[149:150], v[14:15], s[16:17], v[6:7]
	v_fma_f64 v[6:7], v[14:15], s[14:15], v[6:7]
	v_fma_f64 v[4:5], v[4:5], -0.5, v[120:121]
	v_fma_f64 v[151:152], v[161:162], s[8:9], v[149:150]
	v_fma_f64 v[6:7], v[161:162], s[6:7], v[6:7]
	;; [unrolled: 1-line block ×5, first 2 shown]
	v_add_f64 v[6:7], v[122:123], v[18:19]
	v_fma_f64 v[151:152], v[2:3], s[12:13], v[151:152]
	v_add_f64 v[2:3], v[18:19], v[153:154]
	v_fma_f64 v[12:13], v[10:11], s[6:7], v[12:13]
	v_fma_f64 v[4:5], v[10:11], s[8:9], v[4:5]
	v_add_f64 v[6:7], v[6:7], v[22:23]
	v_fma_f64 v[2:3], v[2:3], -0.5, v[122:123]
	v_fma_f64 v[149:150], v[0:1], s[12:13], v[12:13]
	v_fma_f64 v[157:158], v[0:1], s[12:13], v[4:5]
	v_add_f64 v[4:5], v[120:121], v[16:17]
	v_add_f64 v[0:1], v[16:17], v[145:146]
	;; [unrolled: 1-line block ×3, first 2 shown]
	v_add_f64 v[12:13], v[20:21], -v[16:17]
	v_add_f64 v[16:17], v[22:23], -v[18:19]
	;; [unrolled: 1-line block ×3, first 2 shown]
	v_add_f64 v[4:5], v[4:5], v[20:21]
	v_fma_f64 v[0:1], v[0:1], -0.5, v[120:121]
	v_add_f64 v[122:123], v[6:7], v[153:154]
	v_add_f64 v[20:21], v[200:201], -v[196:197]
	v_add_f64 v[12:13], v[12:13], v[18:19]
	v_add_f64 v[4:5], v[4:5], v[74:75]
	v_fma_f64 v[6:7], v[10:11], s[16:17], v[0:1]
	v_fma_f64 v[0:1], v[10:11], s[14:15], v[0:1]
	;; [unrolled: 1-line block ×4, first 2 shown]
	v_add_f64 v[120:121], v[4:5], v[145:146]
	v_add_f64 v[4:5], v[141:142], -v[153:154]
	v_fma_f64 v[0:1], v[8:9], s[8:9], v[0:1]
	v_fma_f64 v[6:7], v[8:9], s[6:7], v[6:7]
	;; [unrolled: 1-line block ×4, first 2 shown]
	v_add_f64 v[14:15], v[189:190], -v[196:197]
	v_add_f64 v[10:11], v[187:188], -v[202:203]
	v_add_f64 v[4:5], v[16:17], v[4:5]
	v_fma_f64 v[165:166], v[12:13], s[12:13], v[0:1]
	v_add_f64 v[0:1], v[189:190], -v[177:178]
	v_fma_f64 v[161:162], v[12:13], s[12:13], v[6:7]
	v_add_f64 v[6:7], v[187:188], v[202:203]
	v_add_f64 v[16:17], v[177:178], -v[200:201]
	v_fma_f64 v[167:168], v[4:5], s[12:13], v[2:3]
	v_add_f64 v[2:3], v[196:197], -v[200:201]
	v_fma_f64 v[163:164], v[4:5], s[12:13], v[8:9]
	v_add_f64 v[4:5], v[198:199], -v[202:203]
	v_fma_f64 v[6:7], v[6:7], -0.5, v[118:119]
	v_add_f64 v[8:9], v[194:195], -v[198:199]
	v_add_f64 v[0:1], v[0:1], v[2:3]
	v_add_f64 v[2:3], v[194:195], -v[187:188]
	v_fma_f64 v[18:19], v[14:15], s[14:15], v[6:7]
	v_fma_f64 v[6:7], v[14:15], s[16:17], v[6:7]
	v_add_f64 v[2:3], v[2:3], v[4:5]
	v_add_f64 v[4:5], v[177:178], v[200:201]
	v_fma_f64 v[18:19], v[16:17], s[8:9], v[18:19]
	v_fma_f64 v[6:7], v[16:17], s[6:7], v[6:7]
	v_fma_f64 v[4:5], v[4:5], -0.5, v[116:117]
	v_fma_f64 v[171:172], v[2:3], s[12:13], v[18:19]
	v_fma_f64 v[175:176], v[2:3], s[12:13], v[6:7]
	v_add_f64 v[6:7], v[118:119], v[187:188]
	v_add_f64 v[2:3], v[194:195], v[198:199]
	v_add_f64 v[18:19], v[187:188], -v[194:195]
	v_fma_f64 v[12:13], v[8:9], s[16:17], v[4:5]
	v_fma_f64 v[4:5], v[8:9], s[14:15], v[4:5]
	v_add_f64 v[6:7], v[6:7], v[194:195]
	v_fma_f64 v[2:3], v[2:3], -0.5, v[118:119]
	v_fma_f64 v[12:13], v[10:11], s[6:7], v[12:13]
	v_fma_f64 v[4:5], v[10:11], s[8:9], v[4:5]
	v_add_f64 v[6:7], v[6:7], v[198:199]
	v_fma_f64 v[169:170], v[0:1], s[12:13], v[12:13]
	v_fma_f64 v[173:174], v[0:1], s[12:13], v[4:5]
	v_add_f64 v[4:5], v[116:117], v[177:178]
	v_add_f64 v[0:1], v[189:190], v[196:197]
	v_add_f64 v[12:13], v[177:178], -v[189:190]
	v_add_f64 v[118:119], v[6:7], v[202:203]
	v_add_f64 v[4:5], v[4:5], v[189:190]
	v_fma_f64 v[0:1], v[0:1], -0.5, v[116:117]
	v_add_f64 v[12:13], v[12:13], v[20:21]
	v_add_f64 v[4:5], v[4:5], v[196:197]
	v_fma_f64 v[6:7], v[10:11], s[14:15], v[0:1]
	v_fma_f64 v[0:1], v[10:11], s[16:17], v[0:1]
	;; [unrolled: 1-line block ×4, first 2 shown]
	v_add_f64 v[116:117], v[4:5], v[200:201]
	v_add_f64 v[4:5], v[202:203], -v[198:199]
	v_fma_f64 v[0:1], v[8:9], s[8:9], v[0:1]
	v_fma_f64 v[6:7], v[8:9], s[6:7], v[6:7]
	;; [unrolled: 1-line block ×4, first 2 shown]
	v_add_f64 v[4:5], v[18:19], v[4:5]
	v_fma_f64 v[198:199], v[12:13], s[12:13], v[0:1]
	v_mad_u16 v0, v68, 25, v69
	v_fma_f64 v[194:195], v[12:13], s[12:13], v[6:7]
	v_and_b32_e32 v0, 0xff, v0
	v_lshl_add_u32 v185, v0, 4, v144
	v_mov_b32_e32 v0, 25
	ds_write_b128 v185, v[70:73]
	ds_write_b128 v185, v[124:127] offset:80
	ds_write_b128 v185, v[133:136] offset:160
	;; [unrolled: 1-line block ×4, first 2 shown]
	v_mul_u32_u24_sdwa v1, v24, v0 dst_sel:DWORD dst_unused:UNUSED_PAD src0_sel:WORD_0 src1_sel:DWORD
	v_mul_u32_u24_sdwa v0, v27, v0 dst_sel:DWORD dst_unused:UNUSED_PAD src0_sel:WORD_0 src1_sel:DWORD
	v_mul_lo_u16 v24, v128, 41
	v_fma_f64 v[196:197], v[4:5], s[12:13], v[8:9]
	v_fma_f64 v[200:201], v[4:5], s[12:13], v[2:3]
	v_add_nc_u32_sdwa v1, v1, v25 dst_sel:DWORD dst_unused:UNUSED_PAD src0_sel:DWORD src1_sel:BYTE_0
	v_add_nc_u32_sdwa v0, v0, v28 dst_sel:DWORD dst_unused:UNUSED_PAD src0_sel:DWORD src1_sel:BYTE_0
	v_lshrrev_b16 v24, 10, v24
	v_lshl_add_u32 v1, v1, 4, v144
	v_lshl_add_u32 v33, v0, 4, v144
	v_mul_lo_u16 v24, v24, 25
	buffer_store_dword v1, off, s[20:23], 0 offset:260 ; 4-byte Folded Spill
	ds_write_b128 v1, v[120:123]
	ds_write_b128 v1, v[149:152] offset:80
	ds_write_b128 v1, v[161:164] offset:160
	;; [unrolled: 1-line block ×4, first 2 shown]
	v_lshlrev_b32_e32 v120, 6, v29
	ds_write_b128 v33, v[116:119]
	ds_write_b128 v33, v[194:197] offset:80
	ds_write_b128 v33, v[169:172] offset:160
	;; [unrolled: 1-line block ×4, first 2 shown]
	s_waitcnt lgkmcnt(0)
	s_waitcnt_vscnt null, 0x0
	s_barrier
	buffer_gl0_inv
	buffer_store_dword v29, off, s[20:23], 0 offset:240 ; 4-byte Folded Spill
	s_clause 0x1
	global_load_dwordx4 v[68:71], v120, s[10:11] offset:320
	global_load_dwordx4 v[72:75], v120, s[10:11] offset:336
	ds_read_b128 v[116:119], v186 offset:1200
	ds_read_b128 v[149:152], v186 offset:800
	v_sub_nc_u16 v24, v156, v24
	v_and_b32_e32 v24, 0xff, v24
	v_lshlrev_b32_e32 v25, 6, v24
	v_lshl_add_u32 v28, v24, 4, v144
	s_waitcnt vmcnt(1) lgkmcnt(1)
	v_mul_f64 v[0:1], v[118:119], v[70:71]
	v_mul_f64 v[2:3], v[116:117], v[70:71]
	v_fma_f64 v[0:1], v[116:117], v[68:69], -v[0:1]
	v_fma_f64 v[2:3], v[118:119], v[68:69], v[2:3]
	ds_read_b128 v[116:119], v186 offset:1600
	ds_read_b128 v[132:135], v186 offset:2000
	s_waitcnt lgkmcnt(1)
	v_mul_f64 v[4:5], v[118:119], v[70:71]
	v_mul_f64 v[6:7], v[116:117], v[70:71]
	v_fma_f64 v[4:5], v[116:117], v[68:69], -v[4:5]
	v_fma_f64 v[6:7], v[118:119], v[68:69], v[6:7]
	ds_read_b128 v[116:119], v186 offset:2400
	ds_read_b128 v[136:139], v186 offset:2800
	s_clause 0x1
	global_load_dwordx4 v[124:127], v120, s[10:11] offset:352
	global_load_dwordx4 v[120:123], v120, s[10:11] offset:368
	s_waitcnt vmcnt(2) lgkmcnt(1)
	v_mul_f64 v[8:9], v[118:119], v[74:75]
	v_mul_f64 v[10:11], v[116:117], v[74:75]
	s_waitcnt lgkmcnt(0)
	v_mul_f64 v[20:21], v[138:139], v[74:75]
	v_mul_f64 v[22:23], v[136:137], v[74:75]
	v_fma_f64 v[8:9], v[116:117], v[72:73], -v[8:9]
	v_fma_f64 v[10:11], v[118:119], v[72:73], v[10:11]
	ds_read_b128 v[116:119], v186 offset:3600
	ds_read_b128 v[140:143], v186 offset:3200
	v_fma_f64 v[20:21], v[136:137], v[72:73], -v[20:21]
	v_fma_f64 v[22:23], v[138:139], v[72:73], v[22:23]
	s_waitcnt vmcnt(1) lgkmcnt(1)
	v_mul_f64 v[12:13], v[118:119], v[126:127]
	v_mul_f64 v[14:15], v[116:117], v[126:127]
	v_fma_f64 v[12:13], v[116:117], v[124:125], -v[12:13]
	v_fma_f64 v[14:15], v[118:119], v[124:125], v[14:15]
	ds_read_b128 v[116:119], v186 offset:4800
	ds_read_b128 v[157:160], v186 offset:5200
	s_waitcnt vmcnt(0) lgkmcnt(1)
	v_mul_f64 v[16:17], v[118:119], v[122:123]
	v_mul_f64 v[18:19], v[116:117], v[122:123]
	v_add_f64 v[175:176], v[10:11], -v[14:15]
	v_add_f64 v[196:197], v[8:9], -v[12:13]
	v_fma_f64 v[16:17], v[116:117], v[120:121], -v[16:17]
	v_fma_f64 v[18:19], v[118:119], v[120:121], v[18:19]
	ds_read_b128 v[116:119], v186 offset:4000
	ds_read_b128 v[161:164], v186 offset:4400
	s_waitcnt lgkmcnt(1)
	v_mul_f64 v[129:130], v[118:119], v[126:127]
	v_add_f64 v[194:195], v[0:1], -v[16:17]
	v_add_f64 v[173:174], v[2:3], -v[18:19]
	v_fma_f64 v[145:146], v[116:117], v[124:125], -v[129:130]
	s_clause 0x1
	global_load_dwordx4 v[136:139], v25, s[10:11] offset:320
	global_load_dwordx4 v[128:131], v25, s[10:11] offset:336
	v_mul_f64 v[116:117], v[116:117], v[126:127]
	v_add_f64 v[202:203], v[20:21], -v[145:146]
	v_fma_f64 v[153:154], v[118:119], v[124:125], v[116:117]
	v_mul_f64 v[116:117], v[159:160], v[122:123]
	v_fma_f64 v[177:178], v[157:158], v[120:121], -v[116:117]
	v_mul_f64 v[116:117], v[157:158], v[122:123]
	v_fma_f64 v[187:188], v[159:160], v[120:121], v[116:117]
	s_waitcnt vmcnt(1)
	v_mul_f64 v[116:117], v[134:135], v[138:139]
	v_fma_f64 v[189:190], v[132:133], v[136:137], -v[116:117]
	v_mul_f64 v[116:117], v[132:133], v[138:139]
	v_fma_f64 v[218:219], v[134:135], v[136:137], v[116:117]
	s_waitcnt vmcnt(0)
	v_mul_f64 v[116:117], v[142:143], v[130:131]
	v_fma_f64 v[220:221], v[140:141], v[128:129], -v[116:117]
	v_mul_f64 v[116:117], v[140:141], v[130:131]
	v_fma_f64 v[222:223], v[142:143], v[128:129], v[116:117]
	s_clause 0x1
	global_load_dwordx4 v[140:143], v25, s[10:11] offset:352
	global_load_dwordx4 v[132:135], v25, s[10:11] offset:368
	s_waitcnt vmcnt(1) lgkmcnt(0)
	v_mul_f64 v[116:117], v[163:164], v[142:143]
	v_fma_f64 v[224:225], v[161:162], v[140:141], -v[116:117]
	v_mul_f64 v[116:117], v[161:162], v[142:143]
	v_add_f64 v[161:162], v[8:9], v[12:13]
	v_fma_f64 v[226:227], v[163:164], v[140:141], v[116:117]
	ds_read_b128 v[116:119], v186 offset:5600
	s_waitcnt vmcnt(0) lgkmcnt(0)
	v_mul_f64 v[157:158], v[118:119], v[134:135]
	v_fma_f64 v[228:229], v[116:117], v[132:133], -v[157:158]
	v_mul_f64 v[116:117], v[116:117], v[134:135]
	v_fma_f64 v[230:231], v[118:119], v[132:133], v[116:117]
	v_add_f64 v[116:117], v[0:1], -v[8:9]
	v_add_f64 v[118:119], v[16:17], -v[12:13]
	v_add_f64 v[165:166], v[116:117], v[118:119]
	v_add_f64 v[116:117], v[2:3], -v[10:11]
	v_add_f64 v[118:119], v[18:19], -v[14:15]
	v_add_f64 v[167:168], v[116:117], v[118:119]
	ds_read_b128 v[116:119], v186
	ds_read_b128 v[157:160], v186 offset:400
	s_waitcnt lgkmcnt(0)
	s_waitcnt_vscnt null, 0x0
	s_barrier
	buffer_gl0_inv
	v_fma_f64 v[169:170], v[161:162], -0.5, v[116:117]
	v_add_f64 v[161:162], v[10:11], v[14:15]
	v_fma_f64 v[171:172], v[161:162], -0.5, v[118:119]
	v_fma_f64 v[161:162], v[173:174], s[14:15], v[169:170]
	v_fma_f64 v[169:170], v[173:174], s[16:17], v[169:170]
	;; [unrolled: 1-line block ×10, first 2 shown]
	v_add_f64 v[169:170], v[0:1], v[16:17]
	v_fma_f64 v[163:164], v[167:168], s[12:13], v[163:164]
	v_fma_f64 v[167:168], v[167:168], s[12:13], v[171:172]
	v_add_f64 v[171:172], v[2:3], v[18:19]
	v_fma_f64 v[169:170], v[169:170], -0.5, v[116:117]
	v_add_f64 v[116:117], v[116:117], v[0:1]
	v_add_f64 v[0:1], v[8:9], -v[0:1]
	v_fma_f64 v[171:172], v[171:172], -0.5, v[118:119]
	v_add_f64 v[118:119], v[118:119], v[2:3]
	v_add_f64 v[2:3], v[10:11], -v[2:3]
	v_add_f64 v[8:9], v[116:117], v[8:9]
	v_add_f64 v[116:117], v[118:119], v[10:11]
	;; [unrolled: 1-line block ×3, first 2 shown]
	v_add_f64 v[12:13], v[12:13], -v[16:17]
	v_add_f64 v[10:11], v[116:117], v[14:15]
	v_add_f64 v[116:117], v[8:9], v[16:17]
	v_add_f64 v[8:9], v[14:15], -v[18:19]
	v_fma_f64 v[14:15], v[175:176], s[14:15], v[169:170]
	v_fma_f64 v[16:17], v[196:197], s[14:15], v[171:172]
	v_add_f64 v[0:1], v[0:1], v[12:13]
	v_add_f64 v[118:119], v[10:11], v[18:19]
	v_fma_f64 v[10:11], v[175:176], s[16:17], v[169:170]
	v_fma_f64 v[18:19], v[196:197], s[16:17], v[171:172]
	v_add_f64 v[2:3], v[2:3], v[8:9]
	v_fma_f64 v[12:13], v[194:195], s[8:9], v[16:17]
	v_fma_f64 v[8:9], v[173:174], s[6:7], v[10:11]
	;; [unrolled: 1-line block ×4, first 2 shown]
	v_add_f64 v[18:19], v[4:5], -v[177:178]
	v_fma_f64 v[171:172], v[2:3], s[12:13], v[12:13]
	v_add_f64 v[12:13], v[6:7], -v[187:188]
	v_fma_f64 v[169:170], v[0:1], s[12:13], v[8:9]
	v_fma_f64 v[173:174], v[0:1], s[12:13], v[10:11]
	;; [unrolled: 1-line block ×3, first 2 shown]
	v_add_f64 v[0:1], v[4:5], -v[20:21]
	v_add_f64 v[2:3], v[177:178], -v[145:146]
	;; [unrolled: 1-line block ×3, first 2 shown]
	v_add_f64 v[10:11], v[22:23], v[153:154]
	v_add_f64 v[14:15], v[22:23], -v[153:154]
	v_add_f64 v[0:1], v[0:1], v[2:3]
	v_add_f64 v[2:3], v[6:7], -v[22:23]
	v_fma_f64 v[10:11], v[10:11], -0.5, v[159:160]
	v_add_f64 v[2:3], v[2:3], v[8:9]
	v_add_f64 v[8:9], v[20:21], v[145:146]
	v_fma_f64 v[194:195], v[18:19], s[16:17], v[10:11]
	v_fma_f64 v[10:11], v[18:19], s[14:15], v[10:11]
	v_fma_f64 v[8:9], v[8:9], -0.5, v[157:158]
	v_fma_f64 v[196:197], v[202:203], s[8:9], v[194:195]
	v_fma_f64 v[10:11], v[202:203], s[6:7], v[10:11]
	;; [unrolled: 1-line block ×5, first 2 shown]
	v_add_f64 v[10:11], v[157:158], v[4:5]
	v_fma_f64 v[196:197], v[2:3], s[12:13], v[196:197]
	v_add_f64 v[2:3], v[6:7], v[187:188]
	v_fma_f64 v[16:17], v[14:15], s[6:7], v[16:17]
	v_fma_f64 v[8:9], v[14:15], s[8:9], v[8:9]
	v_add_f64 v[10:11], v[10:11], v[20:21]
	v_fma_f64 v[2:3], v[2:3], -0.5, v[159:160]
	v_fma_f64 v[194:195], v[0:1], s[12:13], v[16:17]
	v_fma_f64 v[198:199], v[0:1], s[12:13], v[8:9]
	v_add_f64 v[8:9], v[159:160], v[6:7]
	v_add_f64 v[0:1], v[4:5], v[177:178]
	;; [unrolled: 1-line block ×3, first 2 shown]
	v_add_f64 v[6:7], v[22:23], -v[6:7]
	v_add_f64 v[4:5], v[20:21], -v[4:5]
	;; [unrolled: 1-line block ×4, first 2 shown]
	v_add_f64 v[8:9], v[8:9], v[22:23]
	v_fma_f64 v[0:1], v[0:1], -0.5, v[157:158]
	v_add_f64 v[157:158], v[10:11], v[177:178]
	v_add_f64 v[4:5], v[4:5], v[16:17]
	v_add_f64 v[16:17], v[189:190], -v[228:229]
	v_add_f64 v[8:9], v[8:9], v[153:154]
	v_fma_f64 v[10:11], v[14:15], s[16:17], v[0:1]
	v_fma_f64 v[0:1], v[14:15], s[14:15], v[0:1]
	v_fma_f64 v[14:15], v[202:203], s[14:15], v[2:3]
	v_fma_f64 v[2:3], v[202:203], s[16:17], v[2:3]
	v_add_f64 v[159:160], v[8:9], v[187:188]
	v_add_f64 v[8:9], v[153:154], -v[187:188]
	v_fma_f64 v[0:1], v[12:13], s[8:9], v[0:1]
	v_fma_f64 v[2:3], v[18:19], s[6:7], v[2:3]
	v_add_f64 v[6:7], v[6:7], v[8:9]
	v_fma_f64 v[8:9], v[12:13], s[6:7], v[10:11]
	v_fma_f64 v[206:207], v[4:5], s[12:13], v[0:1]
	v_add_f64 v[0:1], v[220:221], -v[189:190]
	v_fma_f64 v[10:11], v[18:19], s[8:9], v[14:15]
	v_add_f64 v[14:15], v[220:221], -v[224:225]
	;; [unrolled: 2-line block ×4, first 2 shown]
	v_fma_f64 v[204:205], v[6:7], s[12:13], v[10:11]
	v_add_f64 v[6:7], v[218:219], v[230:231]
	v_add_f64 v[8:9], v[222:223], -v[226:227]
	v_add_f64 v[10:11], v[218:219], -v[230:231]
	ds_write_b128 v186, v[116:119]
	ds_write_b128 v186, v[157:160] offset:2000
	ds_write_b128 v186, v[161:164] offset:400
	;; [unrolled: 1-line block ×9, first 2 shown]
	v_lshlrev_b32_e32 v172, 5, v29
	v_add_f64 v[0:1], v[0:1], v[2:3]
	v_add_f64 v[2:3], v[222:223], -v[218:219]
	v_fma_f64 v[6:7], v[6:7], -0.5, v[151:152]
	v_add_f64 v[2:3], v[2:3], v[4:5]
	v_add_f64 v[4:5], v[189:190], v[228:229]
	v_fma_f64 v[18:19], v[14:15], s[14:15], v[6:7]
	v_fma_f64 v[6:7], v[14:15], s[16:17], v[6:7]
	v_fma_f64 v[4:5], v[4:5], -0.5, v[149:150]
	v_fma_f64 v[18:19], v[16:17], s[8:9], v[18:19]
	v_fma_f64 v[6:7], v[16:17], s[6:7], v[6:7]
	;; [unrolled: 1-line block ×6, first 2 shown]
	v_add_f64 v[6:7], v[151:152], v[218:219]
	v_add_f64 v[2:3], v[222:223], v[226:227]
	v_add_f64 v[18:19], v[218:219], -v[222:223]
	v_fma_f64 v[12:13], v[10:11], s[6:7], v[12:13]
	v_fma_f64 v[4:5], v[10:11], s[8:9], v[4:5]
	v_add_f64 v[6:7], v[6:7], v[222:223]
	v_fma_f64 v[2:3], v[2:3], -0.5, v[151:152]
	v_fma_f64 v[210:211], v[0:1], s[12:13], v[12:13]
	v_fma_f64 v[214:215], v[0:1], s[12:13], v[4:5]
	v_add_f64 v[4:5], v[149:150], v[189:190]
	v_add_f64 v[0:1], v[220:221], v[224:225]
	;; [unrolled: 1-line block ×3, first 2 shown]
	v_add_f64 v[12:13], v[189:190], -v[220:221]
	v_add_f64 v[4:5], v[4:5], v[220:221]
	v_fma_f64 v[0:1], v[0:1], -0.5, v[149:150]
	v_add_f64 v[151:152], v[6:7], v[230:231]
	v_add_f64 v[12:13], v[12:13], v[20:21]
	v_add_nc_u32_e32 v20, 0x960, v172
	v_add_f64 v[4:5], v[4:5], v[224:225]
	v_fma_f64 v[6:7], v[10:11], s[14:15], v[0:1]
	v_fma_f64 v[0:1], v[10:11], s[16:17], v[0:1]
	;; [unrolled: 1-line block ×4, first 2 shown]
	v_lshlrev_b32_e32 v16, 5, v156
	v_add_f64 v[149:150], v[4:5], v[228:229]
	v_add_f64 v[4:5], v[230:231], -v[226:227]
	v_fma_f64 v[6:7], v[8:9], s[6:7], v[6:7]
	v_fma_f64 v[0:1], v[8:9], s[8:9], v[0:1]
	;; [unrolled: 1-line block ×4, first 2 shown]
	v_add_f64 v[4:5], v[18:19], v[4:5]
	v_fma_f64 v[218:219], v[12:13], s[12:13], v[6:7]
	v_fma_f64 v[222:223], v[12:13], s[12:13], v[0:1]
	;; [unrolled: 1-line block ×4, first 2 shown]
	ds_write_b128 v28, v[149:152] offset:4000
	ds_write_b128 v28, v[218:221] offset:4400
	;; [unrolled: 1-line block ×5, first 2 shown]
	s_waitcnt lgkmcnt(0)
	s_barrier
	buffer_gl0_inv
	s_clause 0x1
	global_load_dwordx4 v[116:119], v172, s[10:11] offset:1920
	global_load_dwordx4 v[144:147], v172, s[10:11] offset:1936
	ds_read_b128 v[149:152], v186 offset:2000
	ds_read_b128 v[194:197], v186 offset:1600
	v_lshlrev_b32_e32 v8, 5, v148
	s_waitcnt vmcnt(1) lgkmcnt(1)
	v_mul_f64 v[0:1], v[151:152], v[118:119]
	v_mul_f64 v[2:3], v[149:150], v[118:119]
	v_fma_f64 v[0:1], v[149:150], v[116:117], -v[0:1]
	v_fma_f64 v[2:3], v[151:152], v[116:117], v[2:3]
	ds_read_b128 v[149:152], v186 offset:4000
	ds_read_b128 v[157:160], v186 offset:4400
	s_waitcnt vmcnt(0) lgkmcnt(1)
	v_mul_f64 v[4:5], v[151:152], v[146:147]
	v_mul_f64 v[6:7], v[149:150], v[146:147]
	v_fma_f64 v[4:5], v[149:150], v[144:145], -v[4:5]
	v_fma_f64 v[6:7], v[151:152], v[144:145], v[6:7]
	s_clause 0x1
	global_load_dwordx4 v[152:155], v8, s[10:11] offset:1920
	global_load_dwordx4 v[148:151], v8, s[10:11] offset:1936
	ds_read_b128 v[161:164], v186 offset:2400
	ds_read_b128 v[168:171], v186 offset:2800
	v_add_f64 v[206:207], v[0:1], v[4:5]
	s_waitcnt vmcnt(1) lgkmcnt(1)
	v_mul_f64 v[10:11], v[161:162], v[154:155]
	s_waitcnt vmcnt(0)
	v_mul_f64 v[12:13], v[159:160], v[150:151]
	v_mul_f64 v[14:15], v[157:158], v[150:151]
	;; [unrolled: 1-line block ×3, first 2 shown]
	v_fma_f64 v[10:11], v[163:164], v[152:153], v[10:11]
	v_fma_f64 v[12:13], v[157:158], v[148:149], -v[12:13]
	v_fma_f64 v[14:15], v[159:160], v[148:149], v[14:15]
	s_clause 0x1
	global_load_dwordx4 v[164:167], v16, s[10:11] offset:1920
	global_load_dwordx4 v[156:159], v16, s[10:11] offset:1936
	v_fma_f64 v[8:9], v[161:162], v[152:153], -v[8:9]
	ds_read_b128 v[160:163], v186 offset:4800
	ds_read_b128 v[173:176], v186 offset:5200
	s_waitcnt vmcnt(1) lgkmcnt(2)
	v_mul_f64 v[16:17], v[170:171], v[166:167]
	s_waitcnt vmcnt(0) lgkmcnt(1)
	v_mul_f64 v[21:22], v[162:163], v[158:159]
	v_mul_f64 v[18:19], v[168:169], v[166:167]
	v_fma_f64 v[16:17], v[168:169], v[164:165], -v[16:17]
	v_fma_f64 v[21:22], v[160:161], v[156:157], -v[21:22]
	v_mul_f64 v[160:161], v[160:161], v[158:159]
	v_fma_f64 v[18:19], v[170:171], v[164:165], v[18:19]
	v_fma_f64 v[187:188], v[162:163], v[156:157], v[160:161]
	s_clause 0x1
	global_load_dwordx4 v[168:171], v20, s[10:11] offset:1920
	global_load_dwordx4 v[160:163], v20, s[10:11] offset:1936
	ds_read_b128 v[198:201], v186 offset:3200
	ds_read_b128 v[202:205], v186 offset:3600
	v_add_nc_u32_e32 v20, 0xc80, v172
	s_waitcnt vmcnt(1) lgkmcnt(1)
	v_mul_f64 v[177:178], v[200:201], v[170:171]
	v_fma_f64 v[189:190], v[198:199], v[168:169], -v[177:178]
	v_mul_f64 v[177:178], v[198:199], v[170:171]
	v_fma_f64 v[238:239], v[200:201], v[168:169], v[177:178]
	s_waitcnt vmcnt(0)
	v_mul_f64 v[177:178], v[175:176], v[162:163]
	v_fma_f64 v[240:241], v[173:174], v[160:161], -v[177:178]
	v_mul_f64 v[173:174], v[173:174], v[162:163]
	v_fma_f64 v[242:243], v[175:176], v[160:161], v[173:174]
	s_clause 0x1
	global_load_dwordx4 v[176:179], v20, s[10:11] offset:1920
	global_load_dwordx4 v[172:175], v20, s[10:11] offset:1936
	s_mov_b32 s10, 0xe8584caa
	s_mov_b32 s11, 0x3febb67a
	s_mov_b32 s18, s10
	s_waitcnt vmcnt(1) lgkmcnt(0)
	v_mul_f64 v[198:199], v[204:205], v[178:179]
	v_fma_f64 v[246:247], v[202:203], v[176:177], -v[198:199]
	v_mul_f64 v[198:199], v[202:203], v[178:179]
	v_fma_f64 v[248:249], v[204:205], v[176:177], v[198:199]
	ds_read_b128 v[198:201], v186 offset:5600
	s_waitcnt vmcnt(0) lgkmcnt(0)
	v_mul_f64 v[202:203], v[200:201], v[174:175]
	v_fma_f64 v[250:251], v[198:199], v[172:173], -v[202:203]
	v_mul_f64 v[198:199], v[198:199], v[174:175]
	v_fma_f64 v[252:253], v[200:201], v[172:173], v[198:199]
	ds_read_b128 v[198:201], v186
	ds_read_b128 v[202:205], v186 offset:400
	ds_read_b128 v[222:225], v186 offset:800
	;; [unrolled: 1-line block ×3, first 2 shown]
	s_waitcnt lgkmcnt(3)
	v_fma_f64 v[208:209], v[206:207], -0.5, v[198:199]
	v_add_f64 v[206:207], v[2:3], v[6:7]
	v_add_f64 v[198:199], v[198:199], v[0:1]
	v_add_f64 v[0:1], v[0:1], -v[4:5]
	v_fma_f64 v[212:213], v[206:207], -0.5, v[200:201]
	v_add_f64 v[200:201], v[200:201], v[2:3]
	v_add_f64 v[2:3], v[2:3], -v[6:7]
	v_add_f64 v[198:199], v[198:199], v[4:5]
	s_waitcnt lgkmcnt(2)
	v_add_f64 v[4:5], v[204:205], v[10:11]
	v_add_f64 v[200:201], v[200:201], v[6:7]
	v_fma_f64 v[206:207], v[2:3], s[10:11], v[208:209]
	v_fma_f64 v[210:211], v[2:3], s[18:19], v[208:209]
	;; [unrolled: 1-line block ×4, first 2 shown]
	v_add_f64 v[0:1], v[8:9], v[12:13]
	v_add_f64 v[2:3], v[10:11], v[14:15]
	v_add_f64 v[10:11], v[10:11], -v[14:15]
	v_add_f64 v[6:7], v[202:203], v[8:9]
	v_fma_f64 v[0:1], v[0:1], -0.5, v[202:203]
	v_fma_f64 v[2:3], v[2:3], -0.5, v[204:205]
	v_add_f64 v[204:205], v[4:5], v[14:15]
	v_add_f64 v[4:5], v[8:9], -v[12:13]
	v_add_f64 v[8:9], v[18:19], -v[187:188]
	v_add_f64 v[202:203], v[6:7], v[12:13]
	s_waitcnt lgkmcnt(1)
	v_add_f64 v[6:7], v[222:223], v[16:17]
	v_add_co_u32 v12, vcc_lo, 0x1770, v182
	v_add_co_ci_u32_e32 v13, vcc_lo, 0, v183, vcc_lo
	v_fma_f64 v[214:215], v[10:11], s[10:11], v[0:1]
	v_fma_f64 v[218:219], v[10:11], s[18:19], v[0:1]
	v_add_f64 v[0:1], v[16:17], v[21:22]
	v_fma_f64 v[216:217], v[4:5], s[18:19], v[2:3]
	v_fma_f64 v[220:221], v[4:5], s[10:11], v[2:3]
	v_add_f64 v[2:3], v[18:19], v[187:188]
	v_add_f64 v[4:5], v[224:225], v[18:19]
	v_fma_f64 v[0:1], v[0:1], -0.5, v[222:223]
	v_add_f64 v[222:223], v[6:7], v[21:22]
	s_waitcnt lgkmcnt(0)
	v_add_f64 v[6:7], v[226:227], v[189:190]
	v_fma_f64 v[2:3], v[2:3], -0.5, v[224:225]
	v_add_f64 v[224:225], v[4:5], v[187:188]
	v_add_f64 v[4:5], v[16:17], -v[21:22]
	v_add_co_u32 v16, vcc_lo, 0x2000, v182
	v_add_co_ci_u32_e32 v17, vcc_lo, 0, v183, vcc_lo
	v_add_co_u32 v21, vcc_lo, 0x2800, v182
	v_add_co_ci_u32_e32 v22, vcc_lo, 0, v183, vcc_lo
	v_fma_f64 v[230:231], v[8:9], s[10:11], v[0:1]
	v_fma_f64 v[234:235], v[8:9], s[18:19], v[0:1]
	v_add_f64 v[0:1], v[189:190], v[240:241]
	v_add_f64 v[8:9], v[238:239], -v[242:243]
	v_fma_f64 v[232:233], v[4:5], s[18:19], v[2:3]
	v_fma_f64 v[236:237], v[4:5], s[10:11], v[2:3]
	v_add_f64 v[2:3], v[238:239], v[242:243]
	v_add_f64 v[4:5], v[228:229], v[238:239]
	v_fma_f64 v[0:1], v[0:1], -0.5, v[226:227]
	v_add_f64 v[226:227], v[6:7], v[240:241]
	v_add_f64 v[6:7], v[194:195], v[246:247]
	v_fma_f64 v[2:3], v[2:3], -0.5, v[228:229]
	v_add_f64 v[228:229], v[4:5], v[242:243]
	v_add_f64 v[4:5], v[189:190], -v[240:241]
	v_fma_f64 v[238:239], v[8:9], s[10:11], v[0:1]
	v_fma_f64 v[242:243], v[8:9], s[18:19], v[0:1]
	v_add_f64 v[0:1], v[246:247], v[250:251]
	v_add_f64 v[8:9], v[248:249], -v[252:253]
	v_fma_f64 v[240:241], v[4:5], s[18:19], v[2:3]
	v_fma_f64 v[244:245], v[4:5], s[10:11], v[2:3]
	v_add_f64 v[2:3], v[248:249], v[252:253]
	v_add_f64 v[4:5], v[196:197], v[248:249]
	v_fma_f64 v[0:1], v[0:1], -0.5, v[194:195]
	v_add_f64 v[194:195], v[6:7], v[250:251]
	v_fma_f64 v[2:3], v[2:3], -0.5, v[196:197]
	v_add_f64 v[196:197], v[4:5], v[252:253]
	v_add_f64 v[4:5], v[246:247], -v[250:251]
	v_fma_f64 v[246:247], v[8:9], s[10:11], v[0:1]
	v_fma_f64 v[250:251], v[8:9], s[18:19], v[0:1]
	;; [unrolled: 1-line block ×4, first 2 shown]
	ds_write_b128 v186, v[198:201]
	ds_write_b128 v186, v[202:205] offset:400
	ds_write_b128 v186, v[222:225] offset:800
	;; [unrolled: 1-line block ×14, first 2 shown]
	s_waitcnt lgkmcnt(0)
	s_barrier
	buffer_gl0_inv
	s_clause 0x6
	global_load_dwordx4 v[194:197], v[180:181], off offset:1904
	global_load_dwordx4 v[210:213], v[12:13], off offset:1200
	;; [unrolled: 1-line block ×7, first 2 shown]
	ds_read_b128 v[198:201], v186
	ds_read_b128 v[206:209], v186 offset:400
	ds_read_b128 v[214:217], v186 offset:1200
	;; [unrolled: 1-line block ×8, first 2 shown]
	s_clause 0x1
	global_load_dwordx4 v[234:237], v[16:17], off offset:608
	global_load_dwordx4 v[250:253], v[16:17], off offset:1008
	s_waitcnt vmcnt(8) lgkmcnt(8)
	v_mul_f64 v[0:1], v[200:201], v[196:197]
	v_mul_f64 v[2:3], v[198:199], v[196:197]
	s_waitcnt vmcnt(4) lgkmcnt(2)
	v_mul_f64 v[14:15], v[189:190], v[182:183]
	v_mul_f64 v[18:19], v[187:188], v[182:183]
	v_fma_f64 v[196:197], v[198:199], v[194:195], -v[0:1]
	v_fma_f64 v[198:199], v[200:201], v[194:195], v[2:3]
	v_mul_f64 v[0:1], v[216:217], v[212:213]
	v_mul_f64 v[2:3], v[214:215], v[212:213]
	v_fma_f64 v[187:188], v[187:188], v[180:181], -v[14:15]
	v_fma_f64 v[189:190], v[189:190], v[180:181], v[18:19]
	s_waitcnt vmcnt(3)
	v_mul_f64 v[14:15], v[208:209], v[204:205]
	v_mul_f64 v[18:19], v[206:207], v[204:205]
	v_fma_f64 v[212:213], v[214:215], v[210:211], -v[0:1]
	v_fma_f64 v[214:215], v[216:217], v[210:211], v[2:3]
	v_mul_f64 v[0:1], v[232:233], v[228:229]
	v_mul_f64 v[2:3], v[230:231], v[228:229]
	v_fma_f64 v[180:181], v[206:207], v[202:203], -v[14:15]
	v_fma_f64 v[182:183], v[208:209], v[202:203], v[18:19]
	v_fma_f64 v[228:229], v[230:231], v[226:227], -v[0:1]
	v_fma_f64 v[230:231], v[232:233], v[226:227], v[2:3]
	ds_read_b128 v[0:3], v186 offset:3200
	s_waitcnt lgkmcnt(1)
	v_mul_f64 v[4:5], v[248:249], v[244:245]
	v_mul_f64 v[6:7], v[246:247], v[244:245]
	v_fma_f64 v[244:245], v[246:247], v[242:243], -v[4:5]
	v_fma_f64 v[246:247], v[248:249], v[242:243], v[6:7]
	s_clause 0x2
	global_load_dwordx4 v[4:7], v[21:22], off offset:960
	global_load_dwordx4 v[200:203], v[12:13], off offset:1600
	;; [unrolled: 1-line block ×3, first 2 shown]
	ds_read_b128 v[208:211], v186 offset:1600
	ds_read_b128 v[12:15], v186 offset:2000
	s_waitcnt vmcnt(1) lgkmcnt(1)
	v_mul_f64 v[18:19], v[210:211], v[202:203]
	v_mul_f64 v[194:195], v[208:209], v[202:203]
	v_fma_f64 v[208:209], v[208:209], v[200:201], -v[18:19]
	v_fma_f64 v[210:211], v[210:211], v[200:201], v[194:195]
	v_mul_f64 v[18:19], v[240:241], v[236:237]
	v_mul_f64 v[194:195], v[238:239], v[236:237]
	v_fma_f64 v[200:201], v[238:239], v[234:235], -v[18:19]
	v_fma_f64 v[202:203], v[240:241], v[234:235], v[194:195]
	s_clause 0x1
	global_load_dwordx4 v[232:235], v[16:17], off offset:1808
	global_load_dwordx4 v[236:239], v[21:22], off offset:160
	ds_read_b128 v[240:243], v186 offset:4000
	ds_read_b128 v[16:19], v186 offset:4400
	s_waitcnt vmcnt(1) lgkmcnt(1)
	v_mul_f64 v[194:195], v[242:243], v[234:235]
	v_mul_f64 v[216:217], v[240:241], v[234:235]
	v_fma_f64 v[240:241], v[240:241], v[232:233], -v[194:195]
	v_fma_f64 v[242:243], v[242:243], v[232:233], v[216:217]
	v_mul_f64 v[194:195], v[10:11], v[6:7]
	v_mul_f64 v[216:217], v[8:9], v[6:7]
	v_fma_f64 v[6:7], v[8:9], v[4:5], -v[194:195]
	v_fma_f64 v[8:9], v[10:11], v[4:5], v[216:217]
	v_mul_f64 v[4:5], v[224:225], v[220:221]
	v_mul_f64 v[10:11], v[222:223], v[220:221]
	v_mul_f64 v[194:195], v[12:13], v[206:207]
	v_fma_f64 v[216:217], v[222:223], v[218:219], -v[4:5]
	v_mul_f64 v[4:5], v[14:15], v[206:207]
	v_fma_f64 v[218:219], v[224:225], v[218:219], v[10:11]
	ds_read_b128 v[220:223], v186 offset:5600
	v_fma_f64 v[10:11], v[12:13], v[204:205], -v[4:5]
	v_fma_f64 v[12:13], v[14:15], v[204:205], v[194:195]
	global_load_dwordx4 v[204:207], v[21:22], off offset:1360
	v_mul_f64 v[4:5], v[2:3], v[252:253]
	v_mul_f64 v[14:15], v[0:1], v[252:253]
	s_waitcnt vmcnt(1) lgkmcnt(1)
	v_mul_f64 v[194:195], v[16:17], v[238:239]
	v_fma_f64 v[0:1], v[0:1], v[250:251], -v[4:5]
	v_mul_f64 v[4:5], v[18:19], v[238:239]
	v_fma_f64 v[2:3], v[2:3], v[250:251], v[14:15]
	v_fma_f64 v[14:15], v[16:17], v[236:237], -v[4:5]
	v_fma_f64 v[16:17], v[18:19], v[236:237], v[194:195]
	s_waitcnt vmcnt(0) lgkmcnt(0)
	v_mul_f64 v[4:5], v[222:223], v[206:207]
	v_mul_f64 v[18:19], v[220:221], v[206:207]
	v_fma_f64 v[220:221], v[220:221], v[204:205], -v[4:5]
	v_fma_f64 v[222:223], v[222:223], v[204:205], v[18:19]
	ds_write_b128 v186, v[196:199]
	ds_write_b128 v186, v[212:215] offset:1200
	ds_write_b128 v186, v[228:231] offset:2400
	ds_write_b128 v186, v[244:247] offset:3600
	ds_write_b128 v186, v[187:190] offset:4800
	ds_write_b128 v186, v[180:183] offset:400
	ds_write_b128 v186, v[208:211] offset:1600
	ds_write_b128 v186, v[200:203] offset:2800
	ds_write_b128 v186, v[240:243] offset:4000
	ds_write_b128 v186, v[6:9] offset:5200
	ds_write_b128 v186, v[216:219] offset:800
	ds_write_b128 v186, v[10:13] offset:2000
	ds_write_b128 v186, v[0:3] offset:3200
	ds_write_b128 v186, v[14:17] offset:4400
	ds_write_b128 v186, v[220:223] offset:5600
	s_waitcnt lgkmcnt(0)
	s_barrier
	buffer_gl0_inv
	ds_read_b128 v[0:3], v186 offset:1200
	ds_read_b128 v[4:7], v186
	ds_read_b128 v[8:11], v186 offset:400
	ds_read_b128 v[12:15], v186 offset:800
	;; [unrolled: 1-line block ×4, first 2 shown]
	s_waitcnt lgkmcnt(4)
	v_add_f64 v[187:188], v[6:7], v[2:3]
	v_add_f64 v[21:22], v[4:5], v[0:1]
	s_waitcnt lgkmcnt(1)
	v_add_f64 v[214:215], v[0:1], -v[16:17]
	v_add_f64 v[216:217], v[16:17], -v[0:1]
	;; [unrolled: 1-line block ×4, first 2 shown]
	v_add_f64 v[202:203], v[187:188], v[18:19]
	ds_read_b128 v[187:190], v186 offset:3600
	ds_read_b128 v[194:197], v186 offset:3200
	v_add_f64 v[21:22], v[21:22], v[16:17]
	s_waitcnt lgkmcnt(1)
	v_add_f64 v[210:211], v[16:17], v[187:188]
	v_add_f64 v[212:213], v[18:19], -v[189:190]
	v_add_f64 v[218:219], v[18:19], v[189:190]
	v_add_f64 v[220:221], v[16:17], -v[187:188]
	ds_read_b128 v[16:19], v186 offset:4800
	ds_read_b128 v[198:201], v186 offset:5200
	s_waitcnt lgkmcnt(1)
	v_add_f64 v[226:227], v[2:3], -v[18:19]
	v_add_f64 v[228:229], v[0:1], v[16:17]
	v_add_f64 v[230:231], v[0:1], -v[16:17]
	v_add_f64 v[232:233], v[2:3], v[18:19]
	v_add_f64 v[0:1], v[21:22], v[187:188]
	;; [unrolled: 1-line block ×3, first 2 shown]
	v_add_f64 v[24:25], v[16:17], -v[187:188]
	v_add_f64 v[234:235], v[187:188], -v[16:17]
	;; [unrolled: 1-line block ×4, first 2 shown]
	v_add_f64 v[0:1], v[0:1], v[16:17]
	v_add_f64 v[2:3], v[2:3], v[18:19]
	ds_read_b128 v[16:19], v186 offset:1600
	ds_read_b128 v[187:190], v186 offset:2000
	v_add_f64 v[24:25], v[214:215], v[24:25]
	s_waitcnt lgkmcnt(1)
	v_add_f64 v[202:203], v[8:9], v[16:17]
	v_add_f64 v[248:249], v[16:17], -v[180:181]
	v_add_f64 v[250:251], v[180:181], -v[16:17]
	;; [unrolled: 1-line block ×4, first 2 shown]
	v_add_f64 v[254:255], v[16:17], v[198:199]
	v_add_f64 v[16:17], v[16:17], -v[198:199]
	v_add_f64 v[29:30], v[18:19], -v[200:201]
	v_add_f64 v[26:27], v[18:19], v[200:201]
	s_waitcnt lgkmcnt(0)
	v_add_f64 v[60:61], v[187:188], -v[194:195]
	v_add_f64 v[48:49], v[194:195], -v[187:188]
	;; [unrolled: 1-line block ×4, first 2 shown]
	v_add_f64 v[240:241], v[202:203], v[180:181]
	v_add_f64 v[202:203], v[10:11], v[18:19]
	;; [unrolled: 1-line block ×3, first 2 shown]
	ds_read_b128 v[202:205], v186 offset:4000
	ds_read_b128 v[206:209], v186 offset:4400
	s_waitcnt lgkmcnt(1)
	v_add_f64 v[244:245], v[180:181], v[202:203]
	v_add_f64 v[22:23], v[180:181], -v[202:203]
	v_add_f64 v[180:181], v[240:241], v[202:203]
	v_add_f64 v[246:247], v[182:183], -v[204:205]
	v_add_f64 v[252:253], v[182:183], v[204:205]
	v_add_f64 v[182:183], v[242:243], v[204:205]
	v_add_f64 v[240:241], v[198:199], -v[202:203]
	v_add_f64 v[242:243], v[202:203], -v[198:199]
	;; [unrolled: 1-line block ×4, first 2 shown]
	s_waitcnt lgkmcnt(0)
	v_add_f64 v[52:53], v[194:195], v[206:207]
	v_add_f64 v[38:39], v[196:197], -v[208:209]
	v_add_f64 v[44:45], v[196:197], v[208:209]
	v_add_f64 v[46:47], v[194:195], -v[206:207]
	v_add_f64 v[202:203], v[180:181], v[198:199]
	v_add_f64 v[180:181], v[12:13], v[187:188]
	;; [unrolled: 1-line block ×5, first 2 shown]
	v_fma_f64 v[194:195], v[210:211], -0.5, v[4:5]
	v_add_f64 v[210:211], v[222:223], v[236:237]
	v_add_f64 v[200:201], v[180:181], v[196:197]
	ds_read_b128 v[180:183], v186 offset:5600
	v_fma_f64 v[196:197], v[218:219], -0.5, v[6:7]
	s_waitcnt lgkmcnt(0)
	s_barrier
	buffer_gl0_inv
	v_add_f64 v[18:19], v[189:190], -v[182:183]
	v_add_f64 v[54:55], v[187:188], v[180:181]
	v_add_f64 v[20:21], v[187:188], -v[180:181]
	v_add_f64 v[58:59], v[189:190], v[182:183]
	v_add_f64 v[187:188], v[198:199], v[206:207]
	;; [unrolled: 1-line block ×3, first 2 shown]
	v_add_f64 v[42:43], v[180:181], -v[206:207]
	v_add_f64 v[62:63], v[206:207], -v[180:181]
	;; [unrolled: 1-line block ×4, first 2 shown]
	v_add_f64 v[198:199], v[216:217], v[234:235]
	v_add_f64 v[200:201], v[224:225], v[238:239]
	;; [unrolled: 1-line block ×4, first 2 shown]
	v_fma_f64 v[187:188], v[228:229], -0.5, v[4:5]
	v_fma_f64 v[189:190], v[232:233], -0.5, v[6:7]
	v_fma_f64 v[4:5], v[212:213], s[14:15], v[187:188]
	v_fma_f64 v[6:7], v[220:221], s[16:17], v[189:190]
	;; [unrolled: 1-line block ×24, first 2 shown]
	ds_write_b128 v193, v[0:3]
	ds_write_b128 v193, v[194:197] offset:16
	ds_write_b128 v193, v[4:7] offset:32
	;; [unrolled: 1-line block ×4, first 2 shown]
	v_fma_f64 v[4:5], v[254:255], -0.5, v[8:9]
	v_fma_f64 v[6:7], v[26:27], -0.5, v[10:11]
	;; [unrolled: 1-line block ×4, first 2 shown]
	v_add_f64 v[10:11], v[250:251], v[242:243]
	v_add_f64 v[26:27], v[31:32], v[34:35]
	v_fma_f64 v[0:1], v[246:247], s[14:15], v[4:5]
	v_fma_f64 v[2:3], v[22:23], s[16:17], v[6:7]
	;; [unrolled: 1-line block ×16, first 2 shown]
	v_add_f64 v[24:25], v[248:249], v[240:241]
	v_add_f64 v[29:30], v[40:41], v[36:37]
	v_fma_f64 v[10:11], v[246:247], s[8:9], v[10:11]
	v_fma_f64 v[26:27], v[22:23], s[6:7], v[26:27]
	;; [unrolled: 1-line block ×8, first 2 shown]
	ds_write_b128 v192, v[202:205]
	ds_write_b128 v192, v[8:11] offset:16
	ds_write_b128 v192, v[0:3] offset:32
	;; [unrolled: 1-line block ×4, first 2 shown]
	v_fma_f64 v[4:5], v[54:55], -0.5, v[12:13]
	v_fma_f64 v[6:7], v[58:59], -0.5, v[14:15]
	;; [unrolled: 1-line block ×4, first 2 shown]
	v_add_f64 v[12:13], v[48:49], v[62:63]
	v_add_f64 v[14:15], v[50:51], v[208:209]
	;; [unrolled: 1-line block ×3, first 2 shown]
	v_fma_f64 v[0:1], v[38:39], s[14:15], v[4:5]
	v_fma_f64 v[2:3], v[46:47], s[16:17], v[6:7]
	;; [unrolled: 1-line block ×16, first 2 shown]
	v_add_f64 v[18:19], v[56:57], v[206:207]
	v_fma_f64 v[12:13], v[38:39], s[8:9], v[12:13]
	v_fma_f64 v[14:15], v[46:47], s[6:7], v[14:15]
	;; [unrolled: 1-line block ×8, first 2 shown]
	ds_write_b128 v191, v[180:183]
	ds_write_b128 v191, v[8:11] offset:16
	ds_write_b128 v191, v[0:3] offset:32
	;; [unrolled: 1-line block ×4, first 2 shown]
	s_waitcnt lgkmcnt(0)
	s_barrier
	buffer_gl0_inv
	ds_read_b128 v[180:183], v186 offset:1200
	ds_read_b128 v[0:3], v186 offset:800
	s_clause 0x3
	buffer_load_dword v6, off, s[20:23], 0 offset:244
	buffer_load_dword v7, off, s[20:23], 0 offset:248
	buffer_load_dword v8, off, s[20:23], 0 offset:252
	buffer_load_dword v9, off, s[20:23], 0 offset:256
	s_waitcnt vmcnt(0) lgkmcnt(1)
	v_mul_f64 v[4:5], v[8:9], v[182:183]
	v_fma_f64 v[20:21], v[6:7], v[180:181], v[4:5]
	v_mul_f64 v[4:5], v[8:9], v[180:181]
	v_fma_f64 v[22:23], v[6:7], v[182:183], -v[4:5]
	ds_read_b128 v[4:7], v186 offset:2400
	ds_read_b128 v[8:11], v186 offset:2800
	s_waitcnt lgkmcnt(1)
	v_mul_f64 v[12:13], v[66:67], v[6:7]
	v_fma_f64 v[24:25], v[64:65], v[4:5], v[12:13]
	v_mul_f64 v[4:5], v[66:67], v[4:5]
	v_fma_f64 v[26:27], v[64:65], v[6:7], -v[4:5]
	ds_read_b128 v[4:7], v186 offset:3600
	ds_read_b128 v[12:15], v186 offset:3200
	s_waitcnt lgkmcnt(1)
	;; [unrolled: 7-line block ×3, first 2 shown]
	v_mul_f64 v[34:35], v[78:79], v[6:7]
	v_add_f64 v[64:65], v[26:27], -v[31:32]
	v_fma_f64 v[34:35], v[76:77], v[4:5], v[34:35]
	v_mul_f64 v[4:5], v[78:79], v[4:5]
	v_fma_f64 v[36:37], v[76:77], v[6:7], -v[4:5]
	ds_read_b128 v[4:7], v186 offset:1600
	ds_read_b128 v[60:63], v186 offset:2000
	s_waitcnt lgkmcnt(1)
	v_mul_f64 v[38:39], v[94:95], v[6:7]
	v_add_f64 v[66:67], v[22:23], -v[36:37]
	v_fma_f64 v[38:39], v[92:93], v[4:5], v[38:39]
	v_mul_f64 v[4:5], v[94:95], v[4:5]
	v_fma_f64 v[40:41], v[92:93], v[6:7], -v[4:5]
	v_mul_f64 v[4:5], v[86:87], v[10:11]
	v_fma_f64 v[42:43], v[84:85], v[8:9], v[4:5]
	v_mul_f64 v[4:5], v[86:87], v[8:9]
	v_add_f64 v[86:87], v[24:25], -v[29:30]
	v_fma_f64 v[44:45], v[84:85], v[10:11], -v[4:5]
	ds_read_b128 v[4:7], v186 offset:4000
	ds_read_b128 v[8:11], v186 offset:4400
	s_waitcnt lgkmcnt(1)
	v_mul_f64 v[46:47], v[98:99], v[6:7]
	v_fma_f64 v[46:47], v[96:97], v[4:5], v[46:47]
	v_mul_f64 v[4:5], v[98:99], v[4:5]
	v_fma_f64 v[48:49], v[96:97], v[6:7], -v[4:5]
	v_mul_f64 v[4:5], v[90:91], v[18:19]
	v_fma_f64 v[50:51], v[88:89], v[16:17], v[4:5]
	v_mul_f64 v[4:5], v[90:91], v[16:17]
	v_fma_f64 v[52:53], v[88:89], v[18:19], -v[4:5]
	v_mul_f64 v[4:5], v[110:111], v[62:63]
	v_add_f64 v[88:89], v[20:21], -v[34:35]
	v_fma_f64 v[54:55], v[108:109], v[60:61], v[4:5]
	v_mul_f64 v[4:5], v[110:111], v[60:61]
	v_fma_f64 v[56:57], v[108:109], v[62:63], -v[4:5]
	v_mul_f64 v[4:5], v[102:103], v[14:15]
	v_fma_f64 v[58:59], v[100:101], v[12:13], v[4:5]
	v_mul_f64 v[4:5], v[102:103], v[12:13]
	v_add_f64 v[12:13], v[20:21], v[34:35]
	v_fma_f64 v[76:77], v[100:101], v[14:15], -v[4:5]
	s_waitcnt lgkmcnt(0)
	v_mul_f64 v[4:5], v[114:115], v[10:11]
	v_fma_f64 v[78:79], v[112:113], v[8:9], v[4:5]
	v_mul_f64 v[4:5], v[114:115], v[8:9]
	v_fma_f64 v[80:81], v[112:113], v[10:11], -v[4:5]
	ds_read_b128 v[4:7], v186 offset:5600
	s_waitcnt lgkmcnt(0)
	v_mul_f64 v[8:9], v[106:107], v[6:7]
	v_fma_f64 v[82:83], v[104:105], v[4:5], v[8:9]
	v_mul_f64 v[4:5], v[106:107], v[4:5]
	v_fma_f64 v[84:85], v[104:105], v[6:7], -v[4:5]
	v_add_f64 v[4:5], v[24:25], -v[20:21]
	v_add_f64 v[6:7], v[29:30], -v[34:35]
	v_add_f64 v[16:17], v[4:5], v[6:7]
	v_add_f64 v[4:5], v[26:27], -v[22:23]
	v_add_f64 v[6:7], v[31:32], -v[36:37]
	v_add_f64 v[18:19], v[4:5], v[6:7]
	ds_read_b128 v[4:7], v186
	ds_read_b128 v[8:11], v186 offset:400
	s_waitcnt lgkmcnt(0)
	s_barrier
	buffer_gl0_inv
	v_fma_f64 v[60:61], v[12:13], -0.5, v[4:5]
	v_add_f64 v[12:13], v[22:23], v[36:37]
	v_fma_f64 v[62:63], v[12:13], -0.5, v[6:7]
	v_fma_f64 v[12:13], v[64:65], s[14:15], v[60:61]
	v_fma_f64 v[60:61], v[64:65], s[16:17], v[60:61]
	;; [unrolled: 1-line block ×10, first 2 shown]
	v_add_f64 v[60:61], v[24:25], v[29:30]
	v_fma_f64 v[14:15], v[18:19], s[12:13], v[14:15]
	v_fma_f64 v[18:19], v[18:19], s[12:13], v[62:63]
	v_add_f64 v[62:63], v[26:27], v[31:32]
	v_fma_f64 v[60:61], v[60:61], -0.5, v[4:5]
	v_add_f64 v[4:5], v[4:5], v[20:21]
	v_add_f64 v[20:21], v[20:21], -v[24:25]
	v_fma_f64 v[62:63], v[62:63], -0.5, v[6:7]
	v_add_f64 v[6:7], v[6:7], v[22:23]
	v_add_f64 v[22:23], v[22:23], -v[26:27]
	v_add_f64 v[4:5], v[4:5], v[24:25]
	v_add_f64 v[24:25], v[34:35], -v[29:30]
	;; [unrolled: 2-line block ×3, first 2 shown]
	v_add_f64 v[4:5], v[4:5], v[29:30]
	v_fma_f64 v[29:30], v[66:67], s[16:17], v[60:61]
	v_add_f64 v[20:21], v[20:21], v[24:25]
	v_add_f64 v[6:7], v[6:7], v[31:32]
	v_fma_f64 v[31:32], v[66:67], s[14:15], v[60:61]
	v_add_f64 v[4:5], v[4:5], v[34:35]
	v_fma_f64 v[34:35], v[88:89], s[14:15], v[62:63]
	;; [unrolled: 2-line block ×4, first 2 shown]
	v_fma_f64 v[26:27], v[64:65], s[6:7], v[31:32]
	v_fma_f64 v[29:30], v[86:87], s[6:7], v[34:35]
	v_add_f64 v[34:35], v[50:51], -v[46:47]
	v_fma_f64 v[60:61], v[20:21], s[12:13], v[24:25]
	v_add_f64 v[24:25], v[42:43], -v[46:47]
	v_fma_f64 v[31:32], v[86:87], s[8:9], v[36:37]
	v_fma_f64 v[64:65], v[20:21], s[12:13], v[26:27]
	;; [unrolled: 1-line block ×3, first 2 shown]
	v_add_f64 v[20:21], v[44:45], -v[48:49]
	v_add_f64 v[26:27], v[38:39], -v[50:51]
	;; [unrolled: 1-line block ×4, first 2 shown]
	v_fma_f64 v[66:67], v[22:23], s[12:13], v[31:32]
	ds_write_b128 v185, v[4:7]
	ds_write_b128 v185, v[60:63] offset:80
	ds_write_b128 v185, v[12:15] offset:160
	;; [unrolled: 1-line block ×4, first 2 shown]
	v_add_f64 v[4:5], v[42:43], -v[38:39]
	v_add_f64 v[6:7], v[46:47], -v[50:51]
	;; [unrolled: 1-line block ×4, first 2 shown]
	v_add_f64 v[12:13], v[4:5], v[6:7]
	v_add_f64 v[4:5], v[44:45], -v[40:41]
	v_add_f64 v[6:7], v[48:49], -v[52:53]
	v_add_f64 v[14:15], v[4:5], v[6:7]
	v_add_f64 v[4:5], v[38:39], v[50:51]
	v_fma_f64 v[16:17], v[4:5], -0.5, v[8:9]
	v_add_f64 v[4:5], v[40:41], v[52:53]
	v_fma_f64 v[18:19], v[4:5], -0.5, v[10:11]
	v_fma_f64 v[4:5], v[20:21], s[14:15], v[16:17]
	v_fma_f64 v[16:17], v[20:21], s[16:17], v[16:17]
	;; [unrolled: 1-line block ×10, first 2 shown]
	v_add_f64 v[16:17], v[42:43], v[46:47]
	v_fma_f64 v[6:7], v[14:15], s[12:13], v[6:7]
	v_fma_f64 v[14:15], v[14:15], s[12:13], v[18:19]
	v_add_f64 v[18:19], v[44:45], v[48:49]
	v_fma_f64 v[16:17], v[16:17], -0.5, v[8:9]
	v_add_f64 v[8:9], v[8:9], v[38:39]
	v_fma_f64 v[18:19], v[18:19], -0.5, v[10:11]
	v_fma_f64 v[38:39], v[22:23], s[16:17], v[16:17]
	v_fma_f64 v[16:17], v[22:23], s[14:15], v[16:17]
	v_add_f64 v[10:11], v[10:11], v[40:41]
	v_add_f64 v[8:9], v[8:9], v[42:43]
	v_fma_f64 v[22:23], v[26:27], s[14:15], v[18:19]
	v_fma_f64 v[18:19], v[26:27], s[16:17], v[18:19]
	v_add_f64 v[26:27], v[29:30], v[34:35]
	v_add_f64 v[29:30], v[31:32], v[36:37]
	;; [unrolled: 4-line block ×3, first 2 shown]
	v_fma_f64 v[22:23], v[24:25], s[6:7], v[22:23]
	v_fma_f64 v[24:25], v[24:25], s[8:9], v[18:19]
	;; [unrolled: 1-line block ×4, first 2 shown]
	buffer_load_dword v20, off, s[20:23], 0 offset:260 ; 4-byte Folded Reload
	v_add_f64 v[10:11], v[10:11], v[48:49]
	v_add_f64 v[8:9], v[8:9], v[50:51]
	v_add_f64 v[26:27], v[56:57], -v[76:77]
	v_add_f64 v[31:32], v[84:85], -v[80:81]
	v_fma_f64 v[18:19], v[29:30], s[12:13], v[22:23]
	v_fma_f64 v[62:63], v[29:30], s[12:13], v[24:25]
	v_add_f64 v[22:23], v[54:55], -v[82:83]
	v_add_f64 v[24:25], v[54:55], -v[58:59]
	;; [unrolled: 1-line block ×3, first 2 shown]
	v_add_f64 v[10:11], v[10:11], v[52:53]
	s_waitcnt vmcnt(0)
	ds_write_b128 v20, v[8:11]
	ds_write_b128 v20, v[16:19] offset:80
	ds_write_b128 v20, v[4:7] offset:160
	;; [unrolled: 1-line block ×4, first 2 shown]
	v_add_f64 v[4:5], v[58:59], -v[54:55]
	v_add_f64 v[6:7], v[78:79], -v[82:83]
	;; [unrolled: 1-line block ×5, first 2 shown]
	v_add_f64 v[8:9], v[4:5], v[6:7]
	v_add_f64 v[4:5], v[76:77], -v[56:57]
	v_add_f64 v[6:7], v[80:81], -v[84:85]
	v_add_f64 v[10:11], v[4:5], v[6:7]
	v_add_f64 v[4:5], v[54:55], v[82:83]
	v_fma_f64 v[12:13], v[4:5], -0.5, v[0:1]
	v_add_f64 v[4:5], v[56:57], v[84:85]
	v_fma_f64 v[14:15], v[4:5], -0.5, v[2:3]
	v_fma_f64 v[4:5], v[16:17], s[14:15], v[12:13]
	v_fma_f64 v[12:13], v[16:17], s[16:17], v[12:13]
	v_fma_f64 v[6:7], v[20:21], s[16:17], v[14:15]
	v_fma_f64 v[14:15], v[20:21], s[14:15], v[14:15]
	v_fma_f64 v[4:5], v[18:19], s[8:9], v[4:5]
	v_fma_f64 v[12:13], v[18:19], s[6:7], v[12:13]
	v_fma_f64 v[6:7], v[22:23], s[6:7], v[6:7]
	v_fma_f64 v[14:15], v[22:23], s[8:9], v[14:15]
	v_fma_f64 v[4:5], v[8:9], s[12:13], v[4:5]
	v_fma_f64 v[8:9], v[8:9], s[12:13], v[12:13]
	v_add_f64 v[12:13], v[58:59], v[78:79]
	v_fma_f64 v[6:7], v[10:11], s[12:13], v[6:7]
	v_fma_f64 v[10:11], v[10:11], s[12:13], v[14:15]
	v_add_f64 v[14:15], v[76:77], v[80:81]
	v_fma_f64 v[12:13], v[12:13], -0.5, v[0:1]
	v_add_f64 v[0:1], v[0:1], v[54:55]
	v_fma_f64 v[14:15], v[14:15], -0.5, v[2:3]
	v_add_f64 v[2:3], v[2:3], v[56:57]
	v_fma_f64 v[34:35], v[18:19], s[16:17], v[12:13]
	v_add_f64 v[0:1], v[0:1], v[58:59]
	v_fma_f64 v[12:13], v[18:19], s[14:15], v[12:13]
	v_fma_f64 v[18:19], v[22:23], s[14:15], v[14:15]
	v_add_f64 v[2:3], v[2:3], v[76:77]
	v_fma_f64 v[14:15], v[22:23], s[16:17], v[14:15]
	v_add_f64 v[0:1], v[0:1], v[78:79]
	v_add_f64 v[22:23], v[24:25], v[29:30]
	;; [unrolled: 1-line block ×3, first 2 shown]
	v_fma_f64 v[26:27], v[16:17], s[8:9], v[34:35]
	v_fma_f64 v[16:17], v[16:17], s[6:7], v[12:13]
	;; [unrolled: 1-line block ×3, first 2 shown]
	v_add_f64 v[2:3], v[2:3], v[80:81]
	v_fma_f64 v[20:21], v[20:21], s[8:9], v[14:15]
	v_add_f64 v[0:1], v[0:1], v[82:83]
	v_fma_f64 v[12:13], v[22:23], s[12:13], v[26:27]
	v_fma_f64 v[16:17], v[22:23], s[12:13], v[16:17]
	v_fma_f64 v[14:15], v[24:25], s[12:13], v[18:19]
	v_add_f64 v[2:3], v[2:3], v[84:85]
	v_fma_f64 v[18:19], v[24:25], s[12:13], v[20:21]
	ds_write_b128 v33, v[0:3]
	ds_write_b128 v33, v[12:15] offset:80
	ds_write_b128 v33, v[4:7] offset:160
	;; [unrolled: 1-line block ×4, first 2 shown]
	s_waitcnt lgkmcnt(0)
	s_barrier
	buffer_gl0_inv
	ds_read_b128 v[0:3], v186 offset:1200
	ds_read_b128 v[4:7], v186 offset:800
	s_waitcnt lgkmcnt(1)
	v_mul_f64 v[8:9], v[70:71], v[2:3]
	v_fma_f64 v[20:21], v[68:69], v[0:1], v[8:9]
	v_mul_f64 v[0:1], v[70:71], v[0:1]
	v_fma_f64 v[22:23], v[68:69], v[2:3], -v[0:1]
	ds_read_b128 v[0:3], v186 offset:1600
	ds_read_b128 v[8:11], v186 offset:2000
	s_waitcnt lgkmcnt(1)
	v_mul_f64 v[12:13], v[70:71], v[2:3]
	v_fma_f64 v[24:25], v[68:69], v[0:1], v[12:13]
	v_mul_f64 v[0:1], v[70:71], v[0:1]
	v_fma_f64 v[26:27], v[68:69], v[2:3], -v[0:1]
	ds_read_b128 v[0:3], v186 offset:2400
	ds_read_b128 v[12:15], v186 offset:2800
	s_waitcnt lgkmcnt(1)
	v_mul_f64 v[16:17], v[74:75], v[2:3]
	v_fma_f64 v[29:30], v[72:73], v[0:1], v[16:17]
	v_mul_f64 v[0:1], v[74:75], v[0:1]
	v_fma_f64 v[31:32], v[72:73], v[2:3], -v[0:1]
	s_waitcnt lgkmcnt(0)
	v_mul_f64 v[0:1], v[74:75], v[14:15]
	v_fma_f64 v[33:34], v[72:73], v[12:13], v[0:1]
	v_mul_f64 v[0:1], v[74:75], v[12:13]
	v_fma_f64 v[35:36], v[72:73], v[14:15], -v[0:1]
	ds_read_b128 v[0:3], v186 offset:3600
	ds_read_b128 v[12:15], v186 offset:3200
	s_waitcnt lgkmcnt(1)
	v_mul_f64 v[16:17], v[126:127], v[2:3]
	v_fma_f64 v[37:38], v[124:125], v[0:1], v[16:17]
	v_mul_f64 v[0:1], v[126:127], v[0:1]
	v_add_f64 v[69:70], v[29:30], -v[37:38]
	v_fma_f64 v[39:40], v[124:125], v[2:3], -v[0:1]
	ds_read_b128 v[0:3], v186 offset:4000
	ds_read_b128 v[16:19], v186 offset:4400
	s_waitcnt lgkmcnt(1)
	v_mul_f64 v[41:42], v[126:127], v[2:3]
	v_add_f64 v[65:66], v[31:32], -v[39:40]
	v_fma_f64 v[41:42], v[124:125], v[0:1], v[41:42]
	v_mul_f64 v[0:1], v[126:127], v[0:1]
	v_add_f64 v[76:77], v[33:34], -v[41:42]
	v_fma_f64 v[43:44], v[124:125], v[2:3], -v[0:1]
	ds_read_b128 v[0:3], v186 offset:4800
	ds_read_b128 v[60:63], v186 offset:5200
	s_waitcnt lgkmcnt(1)
	v_mul_f64 v[45:46], v[122:123], v[0:1]
	v_fma_f64 v[45:46], v[120:121], v[2:3], -v[45:46]
	v_mul_f64 v[2:3], v[122:123], v[2:3]
	v_fma_f64 v[47:48], v[120:121], v[0:1], v[2:3]
	s_waitcnt lgkmcnt(0)
	v_mul_f64 v[0:1], v[122:123], v[62:63]
	v_add_f64 v[67:68], v[20:21], -v[47:48]
	v_fma_f64 v[49:50], v[120:121], v[60:61], v[0:1]
	v_mul_f64 v[0:1], v[122:123], v[60:61]
	v_fma_f64 v[51:52], v[120:121], v[62:63], -v[0:1]
	v_mul_f64 v[0:1], v[138:139], v[10:11]
	v_add_f64 v[63:64], v[22:23], -v[45:46]
	v_fma_f64 v[53:54], v[136:137], v[8:9], v[0:1]
	v_mul_f64 v[0:1], v[138:139], v[8:9]
	v_fma_f64 v[55:56], v[136:137], v[10:11], -v[0:1]
	v_mul_f64 v[0:1], v[130:131], v[14:15]
	v_fma_f64 v[57:58], v[128:129], v[12:13], v[0:1]
	v_mul_f64 v[0:1], v[130:131], v[12:13]
	v_add_f64 v[12:13], v[29:30], v[37:38]
	v_fma_f64 v[92:93], v[128:129], v[14:15], -v[0:1]
	v_mul_f64 v[0:1], v[142:143], v[18:19]
	v_fma_f64 v[94:95], v[140:141], v[16:17], v[0:1]
	v_mul_f64 v[0:1], v[142:143], v[16:17]
	v_fma_f64 v[96:97], v[140:141], v[18:19], -v[0:1]
	ds_read_b128 v[0:3], v186 offset:5600
	s_waitcnt lgkmcnt(0)
	v_mul_f64 v[8:9], v[134:135], v[2:3]
	v_fma_f64 v[98:99], v[132:133], v[0:1], v[8:9]
	v_mul_f64 v[0:1], v[134:135], v[0:1]
	v_fma_f64 v[100:101], v[132:133], v[2:3], -v[0:1]
	v_add_f64 v[0:1], v[20:21], -v[29:30]
	v_add_f64 v[2:3], v[47:48], -v[37:38]
	v_add_f64 v[16:17], v[0:1], v[2:3]
	v_add_f64 v[0:1], v[22:23], -v[31:32]
	v_add_f64 v[2:3], v[45:46], -v[39:40]
	v_add_f64 v[18:19], v[0:1], v[2:3]
	ds_read_b128 v[0:3], v186
	ds_read_b128 v[8:11], v186 offset:400
	s_waitcnt lgkmcnt(0)
	s_barrier
	buffer_gl0_inv
	v_fma_f64 v[59:60], v[12:13], -0.5, v[0:1]
	v_add_f64 v[12:13], v[31:32], v[39:40]
	v_fma_f64 v[61:62], v[12:13], -0.5, v[2:3]
	v_fma_f64 v[12:13], v[63:64], s[16:17], v[59:60]
	v_fma_f64 v[59:60], v[63:64], s[14:15], v[59:60]
	v_fma_f64 v[14:15], v[67:68], s[14:15], v[61:62]
	v_fma_f64 v[61:62], v[67:68], s[16:17], v[61:62]
	v_fma_f64 v[12:13], v[65:66], s[8:9], v[12:13]
	v_fma_f64 v[59:60], v[65:66], s[6:7], v[59:60]
	v_fma_f64 v[14:15], v[69:70], s[6:7], v[14:15]
	v_fma_f64 v[61:62], v[69:70], s[8:9], v[61:62]
	v_fma_f64 v[12:13], v[16:17], s[12:13], v[12:13]
	v_fma_f64 v[16:17], v[16:17], s[12:13], v[59:60]
	v_add_f64 v[59:60], v[20:21], v[47:48]
	v_fma_f64 v[14:15], v[18:19], s[12:13], v[14:15]
	v_fma_f64 v[18:19], v[18:19], s[12:13], v[61:62]
	v_add_f64 v[61:62], v[22:23], v[45:46]
	v_fma_f64 v[59:60], v[59:60], -0.5, v[0:1]
	v_add_f64 v[0:1], v[0:1], v[20:21]
	v_add_f64 v[20:21], v[29:30], -v[20:21]
	v_fma_f64 v[61:62], v[61:62], -0.5, v[2:3]
	v_add_f64 v[2:3], v[2:3], v[22:23]
	v_add_f64 v[22:23], v[31:32], -v[22:23]
	v_add_f64 v[0:1], v[0:1], v[29:30]
	v_add_f64 v[29:30], v[37:38], -v[47:48]
	v_add_f64 v[2:3], v[2:3], v[31:32]
	v_add_f64 v[31:32], v[39:40], -v[45:46]
	v_add_f64 v[0:1], v[0:1], v[37:38]
	v_fma_f64 v[37:38], v[65:66], s[14:15], v[59:60]
	v_add_f64 v[20:21], v[20:21], v[29:30]
	v_add_f64 v[2:3], v[2:3], v[39:40]
	v_fma_f64 v[39:40], v[65:66], s[16:17], v[59:60]
	v_add_f64 v[0:1], v[0:1], v[47:48]
	v_fma_f64 v[47:48], v[69:70], s[14:15], v[61:62]
	;; [unrolled: 2-line block ×4, first 2 shown]
	v_fma_f64 v[31:32], v[63:64], s[6:7], v[39:40]
	v_fma_f64 v[39:40], v[67:68], s[8:9], v[47:48]
	v_add_f64 v[47:48], v[24:25], -v[49:50]
	v_fma_f64 v[60:61], v[20:21], s[12:13], v[29:30]
	v_add_f64 v[29:30], v[51:52], -v[43:44]
	v_fma_f64 v[37:38], v[67:68], s[6:7], v[45:46]
	v_fma_f64 v[64:65], v[20:21], s[12:13], v[31:32]
	;; [unrolled: 1-line block ×3, first 2 shown]
	v_add_f64 v[20:21], v[24:25], -v[33:34]
	v_add_f64 v[31:32], v[35:36], v[43:44]
	v_add_f64 v[39:40], v[35:36], -v[43:44]
	v_fma_f64 v[62:63], v[22:23], s[12:13], v[37:38]
	v_add_f64 v[22:23], v[49:50], -v[41:42]
	v_add_f64 v[37:38], v[26:27], -v[51:52]
	v_fma_f64 v[31:32], v[31:32], -0.5, v[10:11]
	v_add_f64 v[20:21], v[20:21], v[22:23]
	v_add_f64 v[22:23], v[26:27], -v[35:36]
	v_fma_f64 v[68:69], v[47:48], s[14:15], v[31:32]
	v_fma_f64 v[31:32], v[47:48], s[16:17], v[31:32]
	v_add_f64 v[22:23], v[22:23], v[29:30]
	v_add_f64 v[29:30], v[33:34], v[41:42]
	v_fma_f64 v[70:71], v[76:77], s[6:7], v[68:69]
	v_fma_f64 v[31:32], v[76:77], s[8:9], v[31:32]
	v_fma_f64 v[29:30], v[29:30], -0.5, v[8:9]
	v_fma_f64 v[70:71], v[22:23], s[12:13], v[70:71]
	v_fma_f64 v[74:75], v[22:23], s[12:13], v[31:32]
	v_add_f64 v[22:23], v[26:27], v[51:52]
	v_add_f64 v[31:32], v[43:44], -v[51:52]
	v_fma_f64 v[45:46], v[37:38], s[16:17], v[29:30]
	v_fma_f64 v[29:30], v[37:38], s[14:15], v[29:30]
	v_fma_f64 v[22:23], v[22:23], -0.5, v[10:11]
	v_add_f64 v[10:11], v[10:11], v[26:27]
	v_add_f64 v[26:27], v[35:36], -v[26:27]
	v_fma_f64 v[45:46], v[39:40], s[8:9], v[45:46]
	v_fma_f64 v[29:30], v[39:40], s[6:7], v[29:30]
	v_add_f64 v[10:11], v[10:11], v[35:36]
	v_fma_f64 v[35:36], v[76:77], s[16:17], v[22:23]
	v_fma_f64 v[22:23], v[76:77], s[14:15], v[22:23]
	v_add_f64 v[26:27], v[26:27], v[31:32]
	v_fma_f64 v[68:69], v[20:21], s[12:13], v[45:46]
	v_fma_f64 v[72:73], v[20:21], s[12:13], v[29:30]
	v_add_f64 v[20:21], v[24:25], v[49:50]
	v_add_f64 v[29:30], v[41:42], -v[49:50]
	v_add_f64 v[10:11], v[10:11], v[43:44]
	v_fma_f64 v[31:32], v[47:48], s[6:7], v[35:36]
	v_fma_f64 v[22:23], v[47:48], s[8:9], v[22:23]
	v_add_f64 v[35:36], v[57:58], -v[94:95]
	v_fma_f64 v[20:21], v[20:21], -0.5, v[8:9]
	v_add_f64 v[8:9], v[8:9], v[24:25]
	v_add_f64 v[24:25], v[33:34], -v[24:25]
	v_fma_f64 v[78:79], v[26:27], s[12:13], v[31:32]
	v_fma_f64 v[82:83], v[26:27], s[12:13], v[22:23]
	v_add_f64 v[22:23], v[94:95], -v[98:99]
	v_add_f64 v[26:27], v[55:56], v[100:101]
	v_add_f64 v[31:32], v[55:56], -v[100:101]
	v_add_f64 v[10:11], v[10:11], v[51:52]
	v_add_f64 v[8:9], v[8:9], v[33:34]
	v_fma_f64 v[33:34], v[39:40], s[14:15], v[20:21]
	v_fma_f64 v[20:21], v[39:40], s[16:17], v[20:21]
	v_add_f64 v[24:25], v[24:25], v[29:30]
	v_fma_f64 v[26:27], v[26:27], -0.5, v[6:7]
	v_add_f64 v[8:9], v[8:9], v[41:42]
	v_fma_f64 v[29:30], v[37:38], s[8:9], v[33:34]
	v_fma_f64 v[20:21], v[37:38], s[6:7], v[20:21]
	v_add_f64 v[37:38], v[53:54], -v[98:99]
	v_fma_f64 v[39:40], v[35:36], s[16:17], v[26:27]
	v_fma_f64 v[26:27], v[35:36], s[14:15], v[26:27]
	v_add_f64 v[8:9], v[8:9], v[49:50]
	v_fma_f64 v[76:77], v[24:25], s[12:13], v[29:30]
	v_fma_f64 v[80:81], v[24:25], s[12:13], v[20:21]
	v_add_f64 v[20:21], v[57:58], -v[53:54]
	v_add_f64 v[24:25], v[96:97], -v[100:101]
	;; [unrolled: 1-line block ×3, first 2 shown]
	v_fma_f64 v[39:40], v[37:38], s[6:7], v[39:40]
	v_fma_f64 v[26:27], v[37:38], s[8:9], v[26:27]
	v_add_f64 v[20:21], v[20:21], v[22:23]
	v_add_f64 v[22:23], v[92:93], -v[55:56]
	v_add_f64 v[22:23], v[22:23], v[24:25]
	v_add_f64 v[24:25], v[53:54], v[98:99]
	v_fma_f64 v[86:87], v[22:23], s[12:13], v[39:40]
	v_fma_f64 v[24:25], v[24:25], -0.5, v[4:5]
	v_fma_f64 v[90:91], v[22:23], s[12:13], v[26:27]
	v_add_f64 v[22:23], v[92:93], v[96:97]
	v_add_f64 v[26:27], v[55:56], -v[92:93]
	v_add_f64 v[39:40], v[100:101], -v[96:97]
	v_fma_f64 v[33:34], v[29:30], s[14:15], v[24:25]
	v_fma_f64 v[24:25], v[29:30], s[16:17], v[24:25]
	v_fma_f64 v[22:23], v[22:23], -0.5, v[6:7]
	v_add_f64 v[6:7], v[6:7], v[55:56]
	v_add_f64 v[26:27], v[26:27], v[39:40]
	v_fma_f64 v[33:34], v[31:32], s[8:9], v[33:34]
	v_fma_f64 v[24:25], v[31:32], s[6:7], v[24:25]
	v_add_f64 v[6:7], v[6:7], v[92:93]
	v_fma_f64 v[84:85], v[20:21], s[12:13], v[33:34]
	v_fma_f64 v[88:89], v[20:21], s[12:13], v[24:25]
	v_add_f64 v[20:21], v[57:58], v[94:95]
	v_add_f64 v[24:25], v[53:54], -v[57:58]
	v_add_f64 v[33:34], v[98:99], -v[94:95]
	v_add_f64 v[6:7], v[6:7], v[96:97]
	v_fma_f64 v[20:21], v[20:21], -0.5, v[4:5]
	v_add_f64 v[4:5], v[4:5], v[53:54]
	v_add_f64 v[24:25], v[24:25], v[33:34]
	;; [unrolled: 1-line block ×3, first 2 shown]
	v_fma_f64 v[41:42], v[31:32], s[16:17], v[20:21]
	v_add_f64 v[4:5], v[4:5], v[57:58]
	v_fma_f64 v[20:21], v[31:32], s[14:15], v[20:21]
	v_fma_f64 v[31:32], v[37:38], s[14:15], v[22:23]
	v_fma_f64 v[22:23], v[37:38], s[16:17], v[22:23]
	v_fma_f64 v[33:34], v[29:30], s[8:9], v[41:42]
	v_add_f64 v[4:5], v[4:5], v[94:95]
	v_fma_f64 v[20:21], v[29:30], s[6:7], v[20:21]
	v_fma_f64 v[29:30], v[35:36], s[6:7], v[31:32]
	v_fma_f64 v[22:23], v[35:36], s[8:9], v[22:23]
	;; [unrolled: 5-line block ×3, first 2 shown]
	ds_write_b128 v186, v[0:3]
	ds_write_b128 v186, v[8:11] offset:2000
	ds_write_b128 v186, v[12:15] offset:400
	;; [unrolled: 1-line block ×14, first 2 shown]
	s_waitcnt lgkmcnt(0)
	s_barrier
	buffer_gl0_inv
	ds_read_b128 v[0:3], v186 offset:2000
	ds_read_b128 v[4:7], v186 offset:1600
	s_waitcnt lgkmcnt(1)
	v_mul_f64 v[8:9], v[118:119], v[2:3]
	v_fma_f64 v[16:17], v[116:117], v[0:1], v[8:9]
	v_mul_f64 v[0:1], v[118:119], v[0:1]
	v_fma_f64 v[18:19], v[116:117], v[2:3], -v[0:1]
	ds_read_b128 v[0:3], v186 offset:4000
	ds_read_b128 v[8:11], v186 offset:4400
	s_waitcnt lgkmcnt(1)
	v_mul_f64 v[12:13], v[146:147], v[2:3]
	v_fma_f64 v[20:21], v[144:145], v[0:1], v[12:13]
	v_mul_f64 v[0:1], v[146:147], v[0:1]
	v_fma_f64 v[22:23], v[144:145], v[2:3], -v[0:1]
	;; [unrolled: 7-line block ×3, first 2 shown]
	v_mul_f64 v[0:1], v[150:151], v[10:11]
	v_fma_f64 v[28:29], v[148:149], v[8:9], v[0:1]
	v_mul_f64 v[0:1], v[150:151], v[8:9]
	v_fma_f64 v[30:31], v[148:149], v[10:11], -v[0:1]
	s_waitcnt lgkmcnt(0)
	v_mul_f64 v[0:1], v[166:167], v[14:15]
	v_fma_f64 v[32:33], v[164:165], v[12:13], v[0:1]
	v_mul_f64 v[0:1], v[166:167], v[12:13]
	v_fma_f64 v[34:35], v[164:165], v[14:15], -v[0:1]
	ds_read_b128 v[0:3], v186 offset:4800
	ds_read_b128 v[8:11], v186 offset:5200
	s_waitcnt lgkmcnt(1)
	v_mul_f64 v[12:13], v[158:159], v[2:3]
	v_fma_f64 v[36:37], v[156:157], v[0:1], v[12:13]
	v_mul_f64 v[0:1], v[158:159], v[0:1]
	v_fma_f64 v[38:39], v[156:157], v[2:3], -v[0:1]
	ds_read_b128 v[0:3], v186 offset:3200
	ds_read_b128 v[12:15], v186 offset:3600
	s_waitcnt lgkmcnt(1)
	v_mul_f64 v[40:41], v[170:171], v[2:3]
	v_fma_f64 v[40:41], v[168:169], v[0:1], v[40:41]
	v_mul_f64 v[0:1], v[170:171], v[0:1]
	v_fma_f64 v[42:43], v[168:169], v[2:3], -v[0:1]
	v_mul_f64 v[0:1], v[162:163], v[10:11]
	v_fma_f64 v[44:45], v[160:161], v[8:9], v[0:1]
	v_mul_f64 v[0:1], v[162:163], v[8:9]
	v_fma_f64 v[46:47], v[160:161], v[10:11], -v[0:1]
	s_waitcnt lgkmcnt(0)
	v_mul_f64 v[0:1], v[178:179], v[14:15]
	v_fma_f64 v[48:49], v[176:177], v[12:13], v[0:1]
	v_mul_f64 v[0:1], v[178:179], v[12:13]
	v_add_f64 v[12:13], v[16:17], v[20:21]
	v_fma_f64 v[50:51], v[176:177], v[14:15], -v[0:1]
	ds_read_b128 v[0:3], v186 offset:5600
	s_waitcnt lgkmcnt(0)
	v_mul_f64 v[8:9], v[174:175], v[2:3]
	v_fma_f64 v[52:53], v[172:173], v[0:1], v[8:9]
	v_mul_f64 v[0:1], v[174:175], v[0:1]
	v_fma_f64 v[54:55], v[172:173], v[2:3], -v[0:1]
	ds_read_b128 v[0:3], v186
	ds_read_b128 v[8:11], v186 offset:400
	ds_read_b128 v[64:67], v186 offset:800
	;; [unrolled: 1-line block ×3, first 2 shown]
	s_waitcnt lgkmcnt(3)
	v_fma_f64 v[14:15], v[12:13], -0.5, v[0:1]
	v_add_f64 v[12:13], v[18:19], v[22:23]
	v_add_f64 v[0:1], v[0:1], v[16:17]
	v_fma_f64 v[56:57], v[12:13], -0.5, v[2:3]
	v_add_f64 v[2:3], v[2:3], v[18:19]
	v_add_f64 v[18:19], v[18:19], -v[22:23]
	v_add_f64 v[0:1], v[0:1], v[20:21]
	v_add_f64 v[20:21], v[16:17], -v[20:21]
	v_add_f64 v[2:3], v[2:3], v[22:23]
	v_fma_f64 v[12:13], v[18:19], s[18:19], v[14:15]
	v_fma_f64 v[16:17], v[18:19], s[10:11], v[14:15]
	;; [unrolled: 1-line block ×4, first 2 shown]
	v_add_f64 v[20:21], v[24:25], v[28:29]
	s_waitcnt lgkmcnt(2)
	v_fma_f64 v[22:23], v[20:21], -0.5, v[8:9]
	v_add_f64 v[20:21], v[26:27], v[30:31]
	v_add_f64 v[8:9], v[8:9], v[24:25]
	v_add_f64 v[24:25], v[24:25], -v[28:29]
	v_fma_f64 v[56:57], v[20:21], -0.5, v[10:11]
	v_add_f64 v[10:11], v[10:11], v[26:27]
	v_add_f64 v[26:27], v[26:27], -v[30:31]
	v_add_f64 v[8:9], v[8:9], v[28:29]
	s_waitcnt lgkmcnt(1)
	v_add_f64 v[28:29], v[66:67], v[34:35]
	v_fma_f64 v[62:63], v[24:25], s[18:19], v[56:57]
	v_add_f64 v[10:11], v[10:11], v[30:31]
	v_fma_f64 v[20:21], v[26:27], s[18:19], v[22:23]
	v_fma_f64 v[60:61], v[26:27], s[10:11], v[22:23]
	;; [unrolled: 1-line block ×3, first 2 shown]
	v_add_f64 v[24:25], v[32:33], v[36:37]
	v_add_f64 v[26:27], v[34:35], v[38:39]
	v_add_f64 v[34:35], v[34:35], -v[38:39]
	v_add_f64 v[30:31], v[64:65], v[32:33]
	v_fma_f64 v[24:25], v[24:25], -0.5, v[64:65]
	v_fma_f64 v[26:27], v[26:27], -0.5, v[66:67]
	v_add_f64 v[66:67], v[28:29], v[38:39]
	v_add_f64 v[28:29], v[32:33], -v[36:37]
	v_add_f64 v[32:33], v[42:43], -v[46:47]
	v_add_f64 v[64:65], v[30:31], v[36:37]
	s_waitcnt lgkmcnt(0)
	v_add_f64 v[30:31], v[68:69], v[40:41]
	v_fma_f64 v[72:73], v[34:35], s[18:19], v[24:25]
	v_fma_f64 v[76:77], v[34:35], s[10:11], v[24:25]
	v_add_f64 v[24:25], v[40:41], v[44:45]
	v_fma_f64 v[74:75], v[28:29], s[10:11], v[26:27]
	v_fma_f64 v[78:79], v[28:29], s[18:19], v[26:27]
	v_add_f64 v[26:27], v[42:43], v[46:47]
	v_add_f64 v[28:29], v[70:71], v[42:43]
	v_fma_f64 v[24:25], v[24:25], -0.5, v[68:69]
	v_add_f64 v[68:69], v[30:31], v[44:45]
	v_add_f64 v[30:31], v[48:49], -v[52:53]
	v_fma_f64 v[26:27], v[26:27], -0.5, v[70:71]
	v_add_f64 v[70:71], v[28:29], v[46:47]
	v_add_f64 v[28:29], v[40:41], -v[44:45]
	v_fma_f64 v[80:81], v[32:33], s[18:19], v[24:25]
	v_fma_f64 v[84:85], v[32:33], s[10:11], v[24:25]
	v_add_f64 v[24:25], v[48:49], v[52:53]
	v_fma_f64 v[82:83], v[28:29], s[10:11], v[26:27]
	v_fma_f64 v[86:87], v[28:29], s[18:19], v[26:27]
	v_add_f64 v[26:27], v[50:51], v[54:55]
	v_add_f64 v[28:29], v[50:51], -v[54:55]
	v_fma_f64 v[24:25], v[24:25], -0.5, v[4:5]
	v_add_f64 v[4:5], v[4:5], v[48:49]
	v_fma_f64 v[26:27], v[26:27], -0.5, v[6:7]
	v_add_f64 v[6:7], v[6:7], v[50:51]
	v_fma_f64 v[88:89], v[28:29], s[18:19], v[24:25]
	v_add_f64 v[4:5], v[4:5], v[52:53]
	v_fma_f64 v[92:93], v[28:29], s[10:11], v[24:25]
	v_fma_f64 v[90:91], v[30:31], s[10:11], v[26:27]
	v_add_f64 v[6:7], v[6:7], v[54:55]
	v_fma_f64 v[94:95], v[30:31], s[18:19], v[26:27]
	ds_write_b128 v186, v[0:3]
	ds_write_b128 v186, v[8:11] offset:400
	ds_write_b128 v186, v[64:67] offset:800
	;; [unrolled: 1-line block ×14, first 2 shown]
	s_waitcnt lgkmcnt(0)
	s_barrier
	buffer_gl0_inv
	ds_read_b128 v[0:3], v186
	ds_read_b128 v[4:7], v186 offset:400
	s_clause 0x3
	buffer_load_dword v12, off, s[20:23], 0 offset:160
	buffer_load_dword v13, off, s[20:23], 0 offset:164
	;; [unrolled: 1-line block ×4, first 2 shown]
	s_waitcnt vmcnt(0) lgkmcnt(1)
	v_mul_f64 v[8:9], v[14:15], v[2:3]
	v_mul_f64 v[10:11], v[14:15], v[0:1]
	v_fma_f64 v[24:25], v[12:13], v[0:1], v[8:9]
	v_fma_f64 v[26:27], v[12:13], v[2:3], -v[10:11]
	ds_read_b128 v[0:3], v186 offset:1200
	ds_read_b128 v[8:11], v186 offset:800
	s_clause 0x3
	buffer_load_dword v14, off, s[20:23], 0 offset:16
	buffer_load_dword v15, off, s[20:23], 0 offset:20
	buffer_load_dword v16, off, s[20:23], 0 offset:24
	buffer_load_dword v17, off, s[20:23], 0 offset:28
	s_waitcnt vmcnt(0) lgkmcnt(1)
	v_mul_f64 v[12:13], v[16:17], v[2:3]
	v_fma_f64 v[28:29], v[14:15], v[0:1], v[12:13]
	v_mul_f64 v[0:1], v[16:17], v[0:1]
	v_fma_f64 v[30:31], v[14:15], v[2:3], -v[0:1]
	ds_read_b128 v[0:3], v186 offset:2400
	ds_read_b128 v[12:15], v186 offset:2800
	s_clause 0x3
	buffer_load_dword v18, off, s[20:23], 0 offset:64
	buffer_load_dword v19, off, s[20:23], 0 offset:68
	buffer_load_dword v20, off, s[20:23], 0 offset:72
	buffer_load_dword v21, off, s[20:23], 0 offset:76
	s_waitcnt vmcnt(0) lgkmcnt(1)
	v_mul_f64 v[16:17], v[20:21], v[2:3]
	v_fma_f64 v[32:33], v[18:19], v[0:1], v[16:17]
	v_mul_f64 v[0:1], v[20:21], v[0:1]
	;; [unrolled: 12-line block ×3, first 2 shown]
	v_fma_f64 v[38:39], v[38:39], v[2:3], -v[0:1]
	ds_read_b128 v[0:3], v186 offset:4800
	ds_read_b128 v[20:23], v186 offset:5200
	s_clause 0x7
	buffer_load_dword v42, off, s[20:23], 0 offset:48
	buffer_load_dword v43, off, s[20:23], 0 offset:52
	buffer_load_dword v44, off, s[20:23], 0 offset:56
	buffer_load_dword v45, off, s[20:23], 0 offset:60
	buffer_load_dword v46, off, s[20:23], 0 offset:80
	buffer_load_dword v47, off, s[20:23], 0 offset:84
	buffer_load_dword v48, off, s[20:23], 0 offset:88
	buffer_load_dword v49, off, s[20:23], 0 offset:92
	s_waitcnt vmcnt(4) lgkmcnt(1)
	v_mul_f64 v[40:41], v[44:45], v[2:3]
	v_fma_f64 v[40:41], v[42:43], v[0:1], v[40:41]
	v_mul_f64 v[0:1], v[44:45], v[0:1]
	v_fma_f64 v[42:43], v[42:43], v[2:3], -v[0:1]
	s_waitcnt vmcnt(0)
	v_mul_f64 v[0:1], v[48:49], v[6:7]
	v_fma_f64 v[44:45], v[46:47], v[4:5], v[0:1]
	v_mul_f64 v[0:1], v[48:49], v[4:5]
	v_fma_f64 v[46:47], v[46:47], v[6:7], -v[0:1]
	ds_read_b128 v[0:3], v186 offset:1600
	ds_read_b128 v[4:7], v186 offset:2000
	s_clause 0x7
	buffer_load_dword v50, off, s[20:23], 0 offset:96
	buffer_load_dword v51, off, s[20:23], 0 offset:100
	buffer_load_dword v52, off, s[20:23], 0 offset:104
	buffer_load_dword v53, off, s[20:23], 0 offset:108
	buffer_load_dword v54, off, s[20:23], 0 offset:144
	buffer_load_dword v55, off, s[20:23], 0 offset:148
	buffer_load_dword v56, off, s[20:23], 0 offset:152
	buffer_load_dword v57, off, s[20:23], 0 offset:156
	s_waitcnt vmcnt(4) lgkmcnt(1)
	v_mul_f64 v[48:49], v[52:53], v[2:3]
	v_fma_f64 v[48:49], v[50:51], v[0:1], v[48:49]
	v_mul_f64 v[0:1], v[52:53], v[0:1]
	v_fma_f64 v[50:51], v[50:51], v[2:3], -v[0:1]
	s_waitcnt vmcnt(0)
	v_mul_f64 v[0:1], v[56:57], v[14:15]
	v_fma_f64 v[52:53], v[54:55], v[12:13], v[0:1]
	v_mul_f64 v[0:1], v[56:57], v[12:13]
	;; [unrolled: 21-line block ×3, first 2 shown]
	v_fma_f64 v[62:63], v[62:63], v[22:23], -v[0:1]
	s_clause 0x3
	buffer_load_dword v20, off, s[20:23], 0 offset:192
	buffer_load_dword v21, off, s[20:23], 0 offset:196
	;; [unrolled: 1-line block ×4, first 2 shown]
	s_waitcnt vmcnt(0)
	v_mul_f64 v[0:1], v[22:23], v[10:11]
	v_fma_f64 v[64:65], v[20:21], v[8:9], v[0:1]
	v_mul_f64 v[0:1], v[22:23], v[8:9]
	v_fma_f64 v[66:67], v[20:21], v[10:11], -v[0:1]
	s_clause 0x3
	buffer_load_dword v8, off, s[20:23], 0 offset:208
	buffer_load_dword v9, off, s[20:23], 0 offset:212
	;; [unrolled: 1-line block ×4, first 2 shown]
	s_waitcnt vmcnt(0)
	v_mul_f64 v[0:1], v[10:11], v[6:7]
	v_fma_f64 v[68:69], v[8:9], v[4:5], v[0:1]
	v_mul_f64 v[0:1], v[10:11], v[4:5]
	v_fma_f64 v[70:71], v[8:9], v[6:7], -v[0:1]
	s_clause 0x3
	buffer_load_dword v4, off, s[20:23], 0 offset:224
	buffer_load_dword v5, off, s[20:23], 0 offset:228
	;; [unrolled: 1-line block ×4, first 2 shown]
	s_waitcnt vmcnt(0)
	v_mul_f64 v[0:1], v[6:7], v[18:19]
	v_mul_f64 v[2:3], v[6:7], v[16:17]
	v_fma_f64 v[72:73], v[4:5], v[16:17], v[0:1]
	v_fma_f64 v[74:75], v[4:5], v[18:19], -v[2:3]
	s_clause 0x4
	buffer_load_dword v3, off, s[20:23], 0 offset:240
	buffer_load_dword v16, off, s[20:23], 0 offset:112
	;; [unrolled: 1-line block ×5, first 2 shown]
	v_mad_u64_u32 v[0:1], null, s2, v184, 0
	s_mul_i32 s2, s1, 0x4b0
	v_mad_u64_u32 v[1:2], null, s3, v184, v[1:2]
	s_mul_hi_u32 s3, s0, 0x4b0
	v_lshlrev_b64 v[0:1], 4, v[0:1]
	v_add_co_u32 v10, vcc_lo, s4, v0
	v_add_co_ci_u32_e32 v11, vcc_lo, s5, v1, vcc_lo
	s_mul_i32 s4, s0, 0x4b0
	s_add_i32 s5, s3, s2
	s_mov_b32 s2, 0xc3ece2a5
	s_mov_b32 s3, 0x3f65d867
	v_mul_f64 v[20:21], v[52:53], s[2:3]
	v_mul_f64 v[22:23], v[54:55], s[2:3]
	s_waitcnt vmcnt(4)
	v_mad_u64_u32 v[4:5], null, s0, v3, 0
	s_waitcnt vmcnt(0) lgkmcnt(0)
	v_mul_f64 v[6:7], v[18:19], v[14:15]
	v_mul_f64 v[8:9], v[18:19], v[12:13]
	;; [unrolled: 1-line block ×3, first 2 shown]
	v_mov_b32_e32 v2, v5
	v_mad_u64_u32 v[2:3], null, s1, v3, v[2:3]
	s_mulk_i32 s1, 0xeed0
	s_sub_i32 s1, s1, s0
	v_mov_b32_e32 v5, v2
	ds_read_b128 v[0:3], v186 offset:5600
	v_fma_f64 v[76:77], v[16:17], v[12:13], v[6:7]
	v_fma_f64 v[78:79], v[16:17], v[14:15], -v[8:9]
	s_clause 0x3
	buffer_load_dword v12, off, s[20:23], 0
	buffer_load_dword v13, off, s[20:23], 0 offset:4
	buffer_load_dword v14, off, s[20:23], 0 offset:8
	;; [unrolled: 1-line block ×3, first 2 shown]
	v_lshlrev_b64 v[4:5], 4, v[4:5]
	v_mul_f64 v[16:17], v[48:49], s[2:3]
	v_add_co_u32 v10, vcc_lo, v10, v4
	v_add_co_ci_u32_e32 v11, vcc_lo, v11, v5, vcc_lo
	v_mul_f64 v[4:5], v[28:29], s[2:3]
	v_mul_f64 v[28:29], v[60:61], s[2:3]
	s_waitcnt vmcnt(0) lgkmcnt(0)
	v_mul_f64 v[6:7], v[14:15], v[2:3]
	v_mul_f64 v[8:9], v[14:15], v[0:1]
	v_mov_b32_e32 v15, v13
	v_mov_b32_e32 v14, v12
	v_add_co_u32 v12, vcc_lo, v10, s4
	v_add_co_ci_u32_e32 v13, vcc_lo, s5, v11, vcc_lo
	v_add_co_u32 v80, vcc_lo, v12, s4
	v_add_co_ci_u32_e32 v81, vcc_lo, s5, v13, vcc_lo
	;; [unrolled: 2-line block ×4, first 2 shown]
	v_fma_f64 v[84:85], v[14:15], v[0:1], v[6:7]
	v_fma_f64 v[86:87], v[14:15], v[2:3], -v[8:9]
	v_mul_f64 v[0:1], v[24:25], s[2:3]
	v_mad_u64_u32 v[90:91], null, 0xffffeed0, s0, v[88:89]
	v_mul_f64 v[2:3], v[26:27], s[2:3]
	v_mul_f64 v[6:7], v[30:31], s[2:3]
	;; [unrolled: 1-line block ×6, first 2 shown]
	v_add_nc_u32_e32 v91, s1, v91
	v_add_co_u32 v92, vcc_lo, v90, s4
	v_mul_f64 v[30:31], v[62:63], s[2:3]
	v_mul_f64 v[40:41], v[72:73], s[2:3]
	v_add_co_ci_u32_e32 v93, vcc_lo, s5, v91, vcc_lo
	v_add_co_u32 v94, vcc_lo, v92, s4
	v_mul_f64 v[46:47], v[78:79], s[2:3]
	v_add_co_ci_u32_e32 v95, vcc_lo, s5, v93, vcc_lo
	v_add_co_u32 v96, vcc_lo, v94, s4
	;; [unrolled: 3-line block ×3, first 2 shown]
	global_store_dwordx4 v[10:11], v[0:3], off
	v_add_co_ci_u32_e32 v99, vcc_lo, s5, v97, vcc_lo
	v_mul_f64 v[0:1], v[32:33], s[2:3]
	v_mul_f64 v[2:3], v[34:35], s[2:3]
	global_store_dwordx4 v[12:13], v[4:7], off
	v_mad_u64_u32 v[100:101], null, 0xffffeed0, s0, v[98:99]
	v_mul_f64 v[4:5], v[36:37], s[2:3]
	v_mul_f64 v[6:7], v[38:39], s[2:3]
	;; [unrolled: 1-line block ×6, first 2 shown]
	v_add_nc_u32_e32 v101, s1, v101
	v_add_co_u32 v102, vcc_lo, v100, s4
	v_mul_f64 v[36:37], v[68:69], s[2:3]
	v_mul_f64 v[38:39], v[70:71], s[2:3]
	v_add_co_ci_u32_e32 v103, vcc_lo, s5, v101, vcc_lo
	v_mul_f64 v[42:43], v[74:75], s[2:3]
	v_mul_f64 v[44:45], v[76:77], s[2:3]
	v_add_co_u32 v52, vcc_lo, v102, s4
	v_mul_f64 v[50:51], v[86:87], s[2:3]
	v_add_co_ci_u32_e32 v53, vcc_lo, s5, v103, vcc_lo
	v_add_co_u32 v54, vcc_lo, v52, s4
	global_store_dwordx4 v[80:81], v[0:3], off
	v_add_co_ci_u32_e32 v55, vcc_lo, s5, v53, vcc_lo
	v_add_co_u32 v0, vcc_lo, v54, s4
	v_add_co_ci_u32_e32 v1, vcc_lo, s5, v55, vcc_lo
	global_store_dwordx4 v[82:83], v[4:7], off
	global_store_dwordx4 v[88:89], v[8:11], off
	;; [unrolled: 1-line block ×12, first 2 shown]
.LBB0_2:
	s_endpgm
	.section	.rodata,"a",@progbits
	.p2align	6, 0x0
	.amdhsa_kernel bluestein_single_back_len375_dim1_dp_op_CI_CI
		.amdhsa_group_segment_fixed_size 30000
		.amdhsa_private_segment_fixed_size 268
		.amdhsa_kernarg_size 104
		.amdhsa_user_sgpr_count 6
		.amdhsa_user_sgpr_private_segment_buffer 1
		.amdhsa_user_sgpr_dispatch_ptr 0
		.amdhsa_user_sgpr_queue_ptr 0
		.amdhsa_user_sgpr_kernarg_segment_ptr 1
		.amdhsa_user_sgpr_dispatch_id 0
		.amdhsa_user_sgpr_flat_scratch_init 0
		.amdhsa_user_sgpr_private_segment_size 0
		.amdhsa_wavefront_size32 1
		.amdhsa_uses_dynamic_stack 0
		.amdhsa_system_sgpr_private_segment_wavefront_offset 1
		.amdhsa_system_sgpr_workgroup_id_x 1
		.amdhsa_system_sgpr_workgroup_id_y 0
		.amdhsa_system_sgpr_workgroup_id_z 0
		.amdhsa_system_sgpr_workgroup_info 0
		.amdhsa_system_vgpr_workitem_id 0
		.amdhsa_next_free_vgpr 256
		.amdhsa_next_free_sgpr 24
		.amdhsa_reserve_vcc 1
		.amdhsa_reserve_flat_scratch 0
		.amdhsa_float_round_mode_32 0
		.amdhsa_float_round_mode_16_64 0
		.amdhsa_float_denorm_mode_32 3
		.amdhsa_float_denorm_mode_16_64 3
		.amdhsa_dx10_clamp 1
		.amdhsa_ieee_mode 1
		.amdhsa_fp16_overflow 0
		.amdhsa_workgroup_processor_mode 1
		.amdhsa_memory_ordered 1
		.amdhsa_forward_progress 0
		.amdhsa_shared_vgpr_count 0
		.amdhsa_exception_fp_ieee_invalid_op 0
		.amdhsa_exception_fp_denorm_src 0
		.amdhsa_exception_fp_ieee_div_zero 0
		.amdhsa_exception_fp_ieee_overflow 0
		.amdhsa_exception_fp_ieee_underflow 0
		.amdhsa_exception_fp_ieee_inexact 0
		.amdhsa_exception_int_div_zero 0
	.end_amdhsa_kernel
	.text
.Lfunc_end0:
	.size	bluestein_single_back_len375_dim1_dp_op_CI_CI, .Lfunc_end0-bluestein_single_back_len375_dim1_dp_op_CI_CI
                                        ; -- End function
	.section	.AMDGPU.csdata,"",@progbits
; Kernel info:
; codeLenInByte = 19580
; NumSgprs: 26
; NumVgprs: 256
; ScratchSize: 268
; MemoryBound: 0
; FloatMode: 240
; IeeeMode: 1
; LDSByteSize: 30000 bytes/workgroup (compile time only)
; SGPRBlocks: 3
; VGPRBlocks: 31
; NumSGPRsForWavesPerEU: 26
; NumVGPRsForWavesPerEU: 256
; Occupancy: 4
; WaveLimiterHint : 1
; COMPUTE_PGM_RSRC2:SCRATCH_EN: 1
; COMPUTE_PGM_RSRC2:USER_SGPR: 6
; COMPUTE_PGM_RSRC2:TRAP_HANDLER: 0
; COMPUTE_PGM_RSRC2:TGID_X_EN: 1
; COMPUTE_PGM_RSRC2:TGID_Y_EN: 0
; COMPUTE_PGM_RSRC2:TGID_Z_EN: 0
; COMPUTE_PGM_RSRC2:TIDIG_COMP_CNT: 0
	.text
	.p2alignl 6, 3214868480
	.fill 48, 4, 3214868480
	.type	__hip_cuid_2277e41f22e0ed09,@object ; @__hip_cuid_2277e41f22e0ed09
	.section	.bss,"aw",@nobits
	.globl	__hip_cuid_2277e41f22e0ed09
__hip_cuid_2277e41f22e0ed09:
	.byte	0                               ; 0x0
	.size	__hip_cuid_2277e41f22e0ed09, 1

	.ident	"AMD clang version 19.0.0git (https://github.com/RadeonOpenCompute/llvm-project roc-6.4.0 25133 c7fe45cf4b819c5991fe208aaa96edf142730f1d)"
	.section	".note.GNU-stack","",@progbits
	.addrsig
	.addrsig_sym __hip_cuid_2277e41f22e0ed09
	.amdgpu_metadata
---
amdhsa.kernels:
  - .args:
      - .actual_access:  read_only
        .address_space:  global
        .offset:         0
        .size:           8
        .value_kind:     global_buffer
      - .actual_access:  read_only
        .address_space:  global
        .offset:         8
        .size:           8
        .value_kind:     global_buffer
      - .actual_access:  read_only
        .address_space:  global
        .offset:         16
        .size:           8
        .value_kind:     global_buffer
      - .actual_access:  read_only
        .address_space:  global
        .offset:         24
        .size:           8
        .value_kind:     global_buffer
      - .actual_access:  read_only
        .address_space:  global
        .offset:         32
        .size:           8
        .value_kind:     global_buffer
      - .offset:         40
        .size:           8
        .value_kind:     by_value
      - .address_space:  global
        .offset:         48
        .size:           8
        .value_kind:     global_buffer
      - .address_space:  global
        .offset:         56
        .size:           8
        .value_kind:     global_buffer
      - .address_space:  global
        .offset:         64
        .size:           8
        .value_kind:     global_buffer
      - .address_space:  global
        .offset:         72
        .size:           8
        .value_kind:     global_buffer
      - .offset:         80
        .size:           4
        .value_kind:     by_value
      - .address_space:  global
        .offset:         88
        .size:           8
        .value_kind:     global_buffer
      - .address_space:  global
        .offset:         96
        .size:           8
        .value_kind:     global_buffer
    .group_segment_fixed_size: 30000
    .kernarg_segment_align: 8
    .kernarg_segment_size: 104
    .language:       OpenCL C
    .language_version:
      - 2
      - 0
    .max_flat_workgroup_size: 125
    .name:           bluestein_single_back_len375_dim1_dp_op_CI_CI
    .private_segment_fixed_size: 268
    .sgpr_count:     26
    .sgpr_spill_count: 0
    .symbol:         bluestein_single_back_len375_dim1_dp_op_CI_CI.kd
    .uniform_work_group_size: 1
    .uses_dynamic_stack: false
    .vgpr_count:     256
    .vgpr_spill_count: 66
    .wavefront_size: 32
    .workgroup_processor_mode: 1
amdhsa.target:   amdgcn-amd-amdhsa--gfx1030
amdhsa.version:
  - 1
  - 2
...

	.end_amdgpu_metadata
